;; amdgpu-corpus repo=ROCm/rocFFT kind=compiled arch=gfx906 opt=O3
	.text
	.amdgcn_target "amdgcn-amd-amdhsa--gfx906"
	.amdhsa_code_object_version 6
	.protected	bluestein_single_fwd_len320_dim1_dp_op_CI_CI ; -- Begin function bluestein_single_fwd_len320_dim1_dp_op_CI_CI
	.globl	bluestein_single_fwd_len320_dim1_dp_op_CI_CI
	.p2align	8
	.type	bluestein_single_fwd_len320_dim1_dp_op_CI_CI,@function
bluestein_single_fwd_len320_dim1_dp_op_CI_CI: ; @bluestein_single_fwd_len320_dim1_dp_op_CI_CI
; %bb.0:
	s_load_dwordx4 s[16:19], s[4:5], 0x28
	v_mov_b32_e32 v1, v0
	s_mov_b64 s[30:31], s[2:3]
	v_lshrrev_b32_e32 v2, 4, v1
	s_mov_b64 s[28:29], s[0:1]
	v_lshl_or_b32 v201, s6, 2, v2
	v_mov_b32_e32 v202, 0
	s_add_u32 s28, s28, s7
	s_waitcnt lgkmcnt(0)
	v_cmp_gt_u64_e32 vcc, s[16:17], v[201:202]
	s_addc_u32 s29, s29, 0
	s_and_saveexec_b64 s[0:1], vcc
	s_cbranch_execz .LBB0_2
; %bb.1:
	s_load_dwordx4 s[0:3], s[4:5], 0x18
	s_load_dwordx4 s[8:11], s[4:5], 0x0
	v_and_b32_e32 v66, 15, v1
	v_mov_b32_e32 v9, s19
	v_lshlrev_b32_e32 v13, 4, v66
	s_waitcnt lgkmcnt(0)
	s_load_dwordx4 s[12:15], s[0:1], 0x0
	s_add_u32 s16, s8, 0x1400
	s_addc_u32 s17, s9, 0
	global_load_dwordx4 v[18:21], v13, s[8:9]
	v_or_b32_e32 v80, 0x1100, v13
	s_waitcnt lgkmcnt(0)
	v_mad_u64_u32 v[3:4], s[0:1], s14, v201, 0
	v_mad_u64_u32 v[5:6], s[0:1], s12, v66, 0
	v_mov_b32_e32 v0, v4
	s_lshl_b64 s[6:7], s[12:13], 9
	v_mov_b32_e32 v4, v6
	v_mad_u64_u32 v[6:7], s[0:1], s15, v201, v[0:1]
	v_mad_u64_u32 v[7:8], s[0:1], s13, v66, v[4:5]
	v_mov_b32_e32 v4, v6
	v_lshlrev_b64 v[3:4], 4, v[3:4]
	v_mov_b32_e32 v6, v7
	v_add_co_u32_e32 v0, vcc, s18, v3
	v_addc_co_u32_e32 v7, vcc, v9, v4, vcc
	v_lshlrev_b64 v[3:4], 4, v[5:6]
	v_or_b32_e32 v5, 0x1000, v13
	v_add_co_u32_e32 v3, vcc, v0, v3
	v_addc_co_u32_e32 v4, vcc, v7, v4, vcc
	global_load_dwordx4 v[81:84], v[3:4], off
	v_add_co_u32_e32 v3, vcc, s6, v3
	v_mov_b32_e32 v0, s7
	v_addc_co_u32_e32 v4, vcc, v4, v0, vcc
	global_load_dwordx4 v[85:88], v[3:4], off
	global_load_dwordx4 v[46:49], v13, s[8:9] offset:512
	v_add_co_u32_e32 v3, vcc, s6, v3
	v_addc_co_u32_e32 v4, vcc, v4, v0, vcc
	global_load_dwordx4 v[62:65], v13, s[8:9] offset:1024
	global_load_dwordx4 v[89:92], v[3:4], off
	s_load_dwordx4 s[0:3], s[2:3], 0x0
	v_mul_u32_u24_e32 v8, 0x140, v2
	v_or_b32_e32 v2, 0x1200, v13
	global_load_dwordx4 v[178:181], v13, s[8:9] offset:1536
	global_load_dwordx4 v[174:177], v13, s[8:9] offset:2048
	;; [unrolled: 1-line block ×5, first 2 shown]
	global_load_dwordx4 v[75:78], v5, s[8:9]
	global_load_dwordx4 v[22:25], v2, s[8:9]
	v_add_co_u32_e32 v2, vcc, s6, v3
	s_waitcnt lgkmcnt(0)
	v_mad_u64_u32 v[5:6], s[14:15], s2, v201, 0
	buffer_store_dword v5, off, s[28:31], 0 offset:160 ; 4-byte Folded Spill
	s_nop 0
	buffer_store_dword v6, off, s[28:31], 0 offset:164 ; 4-byte Folded Spill
	v_addc_co_u32_e32 v3, vcc, v4, v0, vcc
	v_add_co_u32_e32 v4, vcc, s6, v2
	v_addc_co_u32_e32 v5, vcc, v3, v0, vcc
	global_load_dwordx4 v[93:96], v[2:3], off
	global_load_dwordx4 v[97:100], v[4:5], off
	v_add_co_u32_e32 v2, vcc, s6, v4
	v_addc_co_u32_e32 v3, vcc, v5, v0, vcc
	v_add_co_u32_e32 v4, vcc, s6, v2
	v_addc_co_u32_e32 v5, vcc, v3, v0, vcc
	global_load_dwordx4 v[101:104], v[2:3], off
	v_add_co_u32_e32 v2, vcc, s6, v4
	v_addc_co_u32_e32 v3, vcc, v5, v0, vcc
	global_load_dwordx4 v[105:108], v[4:5], off
	v_add_co_u32_e32 v4, vcc, s6, v2
	v_addc_co_u32_e32 v5, vcc, v3, v0, vcc
	global_load_dwordx4 v[50:53], v13, s[8:9] offset:256
	v_mov_b32_e32 v9, 0xffffef00
	s_mul_i32 s2, s13, 0xffffef00
	s_sub_i32 s2, s2, s12
	v_or_b32_e32 v79, 0x1300, v13
	v_lshl_or_b32 v253, v8, 4, v13
	s_mov_b32 s15, 0xbfee6f0e
	s_mov_b32 s19, 0xbfe2cf23
	;; [unrolled: 1-line block ×7, first 2 shown]
	s_load_dwordx2 s[4:5], s[4:5], 0x38
	s_waitcnt vmcnt(16)
	v_mul_f64 v[11:12], v[85:86], v[48:49]
	s_waitcnt vmcnt(14)
	v_mul_f64 v[14:15], v[91:92], v[64:65]
	v_mul_f64 v[16:17], v[89:90], v[64:65]
	v_mov_b32_e32 v161, v6
	v_add_co_u32_e32 v6, vcc, s6, v4
	v_addc_co_u32_e32 v7, vcc, v5, v0, vcc
	global_load_dwordx4 v[109:112], v[2:3], off
	global_load_dwordx4 v[113:116], v[4:5], off
	global_load_dwordx4 v[117:120], v[6:7], off
	v_mul_f64 v[2:3], v[83:84], v[20:21]
	v_mad_u64_u32 v[9:10], s[12:13], s12, v9, v[6:7]
	v_mul_f64 v[6:7], v[81:82], v[20:21]
	s_mov_b32 s12, 0x372fe950
	v_add_u32_e32 v10, s2, v10
	v_add_co_u32_e32 v4, vcc, s6, v9
	global_load_dwordx4 v[121:124], v[9:10], off
	v_addc_co_u32_e32 v5, vcc, v10, v0, vcc
	v_fma_f64 v[2:3], v[81:82], v[18:19], v[2:3]
	buffer_store_dword v18, off, s[28:31], 0 offset:312 ; 4-byte Folded Spill
	s_nop 0
	buffer_store_dword v19, off, s[28:31], 0 offset:316 ; 4-byte Folded Spill
	buffer_store_dword v20, off, s[28:31], 0 offset:320 ; 4-byte Folded Spill
	;; [unrolled: 1-line block ×3, first 2 shown]
	global_load_dwordx4 v[125:128], v[4:5], off
	global_load_dwordx4 v[54:57], v13, s[8:9] offset:768
	v_add_co_u32_e32 v4, vcc, s6, v4
	v_addc_co_u32_e32 v5, vcc, v5, v0, vcc
	global_load_dwordx4 v[129:132], v[4:5], off
	global_load_dwordx4 v[58:61], v13, s[8:9] offset:1280
	v_add_co_u32_e32 v4, vcc, s6, v4
	v_addc_co_u32_e32 v5, vcc, v5, v0, vcc
	;; [unrolled: 4-line block ×7, first 2 shown]
	global_load_dwordx4 v[153:156], v[4:5], off
	v_add_co_u32_e32 v4, vcc, s6, v4
	v_addc_co_u32_e32 v5, vcc, v5, v0, vcc
	v_mul_f64 v[9:10], v[87:88], v[48:49]
	global_load_dwordx4 v[26:29], v80, s[8:9]
	global_load_dwordx4 v[30:33], v79, s[8:9]
	global_load_dwordx4 v[157:160], v[4:5], off
	s_nop 0
	buffer_store_dword v46, off, s[28:31], 0 offset:296 ; 4-byte Folded Spill
	s_nop 0
	buffer_store_dword v47, off, s[28:31], 0 offset:300 ; 4-byte Folded Spill
	buffer_store_dword v48, off, s[28:31], 0 offset:304 ; 4-byte Folded Spill
	;; [unrolled: 1-line block ×4, first 2 shown]
	s_nop 0
	buffer_store_dword v63, off, s[28:31], 0 offset:284 ; 4-byte Folded Spill
	buffer_store_dword v64, off, s[28:31], 0 offset:288 ; 4-byte Folded Spill
	;; [unrolled: 1-line block ×3, first 2 shown]
	s_waitcnt vmcnt(47)
	buffer_store_dword v178, off, s[28:31], 0 offset:264 ; 4-byte Folded Spill
	s_nop 0
	buffer_store_dword v179, off, s[28:31], 0 offset:268 ; 4-byte Folded Spill
	buffer_store_dword v180, off, s[28:31], 0 offset:272 ; 4-byte Folded Spill
	;; [unrolled: 1-line block ×3, first 2 shown]
	s_waitcnt vmcnt(50)
	buffer_store_dword v174, off, s[28:31], 0 offset:248 ; 4-byte Folded Spill
	s_nop 0
	buffer_store_dword v175, off, s[28:31], 0 offset:252 ; 4-byte Folded Spill
	buffer_store_dword v176, off, s[28:31], 0 offset:256 ; 4-byte Folded Spill
	;; [unrolled: 1-line block ×3, first 2 shown]
	v_or_b32_e32 v0, v8, v66
	v_lshlrev_b32_e32 v254, 4, v0
	s_mov_b32 s6, 0x134454ff
	s_mov_b32 s7, 0x3fee6f0e
	;; [unrolled: 1-line block ×8, first 2 shown]
	v_cmp_gt_u32_e32 vcc, 10, v66
	v_fma_f64 v[4:5], v[83:84], v[18:19], -v[6:7]
	v_fma_f64 v[9:10], v[85:86], v[46:47], v[9:10]
	v_fma_f64 v[81:82], v[89:90], v[62:63], v[14:15]
	v_fma_f64 v[83:84], v[91:92], v[62:63], -v[16:17]
	s_waitcnt vmcnt(46)
	v_mul_f64 v[6:7], v[95:96], v[180:181]
	v_mul_f64 v[14:15], v[93:94], v[180:181]
	v_fma_f64 v[11:12], v[87:88], v[46:47], -v[11:12]
	s_waitcnt vmcnt(45)
	v_mul_f64 v[16:17], v[99:100], v[176:177]
	v_mul_f64 v[18:19], v[97:98], v[176:177]
	ds_write_b128 v254, v[2:5]
	ds_write_b128 v254, v[9:12] offset:512
	v_mov_b32_e32 v9, v1
	ds_write_b128 v253, v[81:84] offset:1024
	v_fma_f64 v[1:2], v[93:94], v[178:179], v[6:7]
	v_fma_f64 v[3:4], v[95:96], v[178:179], -v[14:15]
	buffer_store_dword v170, off, s[28:31], 0 offset:232 ; 4-byte Folded Spill
	s_nop 0
	buffer_store_dword v171, off, s[28:31], 0 offset:236 ; 4-byte Folded Spill
	buffer_store_dword v172, off, s[28:31], 0 offset:240 ; 4-byte Folded Spill
	buffer_store_dword v173, off, s[28:31], 0 offset:244 ; 4-byte Folded Spill
	buffer_store_dword v166, off, s[28:31], 0 offset:216 ; 4-byte Folded Spill
	s_nop 0
	buffer_store_dword v167, off, s[28:31], 0 offset:220 ; 4-byte Folded Spill
	buffer_store_dword v168, off, s[28:31], 0 offset:224 ; 4-byte Folded Spill
	buffer_store_dword v169, off, s[28:31], 0 offset:228 ; 4-byte Folded Spill
	;; [unrolled: 5-line block ×3, first 2 shown]
	v_fma_f64 v[81:82], v[97:98], v[174:175], v[16:17]
	v_fma_f64 v[83:84], v[99:100], v[174:175], -v[18:19]
	v_mov_b32_e32 v49, v25
	v_mov_b32_e32 v48, v24
	;; [unrolled: 1-line block ×4, first 2 shown]
	ds_write_b128 v253, v[1:4] offset:1536
	ds_write_b128 v253, v[81:84] offset:2048
	buffer_store_dword v75, off, s[28:31], 0 offset:184 ; 4-byte Folded Spill
	s_nop 0
	buffer_store_dword v76, off, s[28:31], 0 offset:188 ; 4-byte Folded Spill
	buffer_store_dword v77, off, s[28:31], 0 offset:192 ; 4-byte Folded Spill
	;; [unrolled: 1-line block ×4, first 2 shown]
	s_nop 0
	buffer_store_dword v47, off, s[28:31], 0 offset:172 ; 4-byte Folded Spill
	buffer_store_dword v48, off, s[28:31], 0 offset:176 ; 4-byte Folded Spill
	;; [unrolled: 1-line block ×3, first 2 shown]
	s_waitcnt vmcnt(62)
	buffer_store_dword v50, off, s[28:31], 0 offset:144 ; 4-byte Folded Spill
	s_nop 0
	buffer_store_dword v51, off, s[28:31], 0 offset:148 ; 4-byte Folded Spill
	buffer_store_dword v52, off, s[28:31], 0 offset:152 ; 4-byte Folded Spill
	;; [unrolled: 1-line block ×3, first 2 shown]
	s_waitcnt vmcnt(56)
	buffer_store_dword v54, off, s[28:31], 0 offset:112 ; 4-byte Folded Spill
	s_nop 0
	buffer_store_dword v55, off, s[28:31], 0 offset:116 ; 4-byte Folded Spill
	buffer_store_dword v56, off, s[28:31], 0 offset:120 ; 4-byte Folded Spill
	;; [unrolled: 1-line block ×3, first 2 shown]
	v_mul_f64 v[5:6], v[103:104], v[172:173]
	v_mul_f64 v[10:11], v[101:102], v[172:173]
	;; [unrolled: 1-line block ×6, first 2 shown]
	v_fma_f64 v[1:2], v[101:102], v[170:171], v[5:6]
	v_fma_f64 v[3:4], v[103:104], v[170:171], -v[10:11]
	v_fma_f64 v[85:86], v[109:110], v[162:163], v[18:19]
	v_fma_f64 v[87:88], v[111:112], v[162:163], -v[20:21]
	v_mul_f64 v[5:6], v[115:116], v[77:78]
	v_mul_f64 v[10:11], v[113:114], v[77:78]
	;; [unrolled: 1-line block ×6, first 2 shown]
	v_fma_f64 v[81:82], v[105:106], v[166:167], v[14:15]
	v_fma_f64 v[83:84], v[107:108], v[166:167], -v[16:17]
	v_mul_f64 v[14:15], v[119:120], v[48:49]
	v_mul_f64 v[16:17], v[117:118], v[48:49]
	v_fma_f64 v[97:98], v[121:122], v[50:51], v[18:19]
	v_fma_f64 v[99:100], v[123:124], v[50:51], -v[20:21]
	v_fma_f64 v[101:102], v[125:126], v[54:55], v[22:23]
	v_fma_f64 v[103:104], v[127:128], v[54:55], -v[24:25]
	;; [unrolled: 2-line block ×4, first 2 shown]
	ds_write_b128 v253, v[1:4] offset:2560
	ds_write_b128 v253, v[81:84] offset:3072
	;; [unrolled: 1-line block ×7, first 2 shown]
	s_waitcnt vmcnt(58)
	buffer_store_dword v58, off, s[28:31], 0 offset:128 ; 4-byte Folded Spill
	s_nop 0
	buffer_store_dword v59, off, s[28:31], 0 offset:132 ; 4-byte Folded Spill
	buffer_store_dword v60, off, s[28:31], 0 offset:136 ; 4-byte Folded Spill
	buffer_store_dword v61, off, s[28:31], 0 offset:140 ; 4-byte Folded Spill
	s_waitcnt vmcnt(60)
	buffer_store_dword v67, off, s[28:31], 0 offset:96 ; 4-byte Folded Spill
	s_nop 0
	buffer_store_dword v68, off, s[28:31], 0 offset:100 ; 4-byte Folded Spill
	buffer_store_dword v69, off, s[28:31], 0 offset:104 ; 4-byte Folded Spill
	buffer_store_dword v70, off, s[28:31], 0 offset:108 ; 4-byte Folded Spill
	;; [unrolled: 6-line block ×4, first 2 shown]
	s_waitcnt vmcnt(61)
	buffer_store_dword v30, off, s[28:31], 0 ; 4-byte Folded Spill
	s_nop 0
	buffer_store_dword v31, off, s[28:31], 0 offset:4 ; 4-byte Folded Spill
	buffer_store_dword v32, off, s[28:31], 0 offset:8 ; 4-byte Folded Spill
	;; [unrolled: 1-line block ×3, first 2 shown]
	v_or_b32_e32 v10, 16, v66
	v_mov_b32_e32 v77, v66
	v_mul_f64 v[0:1], v[131:132], v[60:61]
	v_mul_f64 v[5:6], v[135:136], v[69:70]
	;; [unrolled: 1-line block ×8, first 2 shown]
	s_waitcnt vmcnt(62)
	v_mul_f64 v[22:23], v[159:160], v[32:33]
	v_fma_f64 v[81:82], v[133:134], v[67:68], v[5:6]
	v_fma_f64 v[83:84], v[135:136], v[67:68], -v[11:12]
	v_fma_f64 v[89:90], v[141:142], v[38:39], v[18:19]
	v_fma_f64 v[91:92], v[143:144], v[38:39], -v[20:21]
	v_mov_b32_e32 v41, v37
	v_fma_f64 v[85:86], v[137:138], v[71:72], v[14:15]
	v_fma_f64 v[87:88], v[139:140], v[71:72], -v[16:17]
	v_mul_f64 v[5:6], v[147:148], v[44:45]
	v_mul_f64 v[11:12], v[145:146], v[44:45]
	;; [unrolled: 1-line block ×4, first 2 shown]
	v_mov_b32_e32 v40, v36
	v_mov_b32_e32 v39, v35
	;; [unrolled: 1-line block ×4, first 2 shown]
	buffer_store_dword v42, off, s[28:31], 0 offset:48 ; 4-byte Folded Spill
	s_nop 0
	buffer_store_dword v43, off, s[28:31], 0 offset:52 ; 4-byte Folded Spill
	buffer_store_dword v44, off, s[28:31], 0 offset:56 ; 4-byte Folded Spill
	;; [unrolled: 1-line block ×3, first 2 shown]
	v_mov_b32_e32 v36, v28
	v_mov_b32_e32 v35, v27
	;; [unrolled: 1-line block ×3, first 2 shown]
	buffer_store_dword v38, off, s[28:31], 0 offset:32 ; 4-byte Folded Spill
	s_nop 0
	buffer_store_dword v39, off, s[28:31], 0 offset:36 ; 4-byte Folded Spill
	buffer_store_dword v40, off, s[28:31], 0 offset:40 ; 4-byte Folded Spill
	;; [unrolled: 1-line block ×4, first 2 shown]
	s_nop 0
	buffer_store_dword v35, off, s[28:31], 0 offset:20 ; 4-byte Folded Spill
	buffer_store_dword v36, off, s[28:31], 0 offset:24 ; 4-byte Folded Spill
	;; [unrolled: 1-line block ×3, first 2 shown]
	v_mul_f64 v[18:19], v[155:156], v[28:29]
	v_mul_f64 v[20:21], v[153:154], v[28:29]
	;; [unrolled: 1-line block ×3, first 2 shown]
	v_fma_f64 v[1:2], v[129:130], v[58:59], v[0:1]
	v_fma_f64 v[3:4], v[131:132], v[58:59], -v[3:4]
	v_fma_f64 v[105:106], v[157:158], v[30:31], v[22:23]
	v_fma_f64 v[107:108], v[159:160], v[30:31], -v[24:25]
	;; [unrolled: 2-line block ×5, first 2 shown]
	ds_write_b128 v253, v[1:4] offset:1280
	ds_write_b128 v253, v[81:84] offset:1792
	;; [unrolled: 1-line block ×8, first 2 shown]
	s_waitcnt lgkmcnt(0)
	; wave barrier
	s_waitcnt lgkmcnt(0)
	ds_read_b128 v[129:132], v254
	ds_read_b128 v[121:124], v254 offset:512
	ds_read_b128 v[133:136], v253 offset:1024
	;; [unrolled: 1-line block ×12, first 2 shown]
	s_waitcnt lgkmcnt(8)
	v_add_f64 v[11:12], v[137:138], v[141:142]
	s_waitcnt lgkmcnt(4)
	v_add_f64 v[20:21], v[133:134], v[149:150]
	v_add_f64 v[14:15], v[135:136], -v[151:152]
	v_add_f64 v[18:19], v[139:140], -v[143:144]
	;; [unrolled: 1-line block ×6, first 2 shown]
	v_fma_f64 v[11:12], v[11:12], -0.5, v[129:130]
	v_fma_f64 v[20:21], v[20:21], -0.5, v[129:130]
	v_add_f64 v[30:31], v[131:132], v[135:136]
	v_add_f64 v[32:33], v[139:140], v[143:144]
	v_add_f64 v[34:35], v[135:136], -v[139:140]
	v_add_f64 v[22:23], v[22:23], v[24:25]
	v_add_f64 v[36:37], v[151:152], -v[143:144]
	v_add_f64 v[44:45], v[143:144], -v[151:152]
	v_fma_f64 v[16:17], v[14:15], s[6:7], v[11:12]
	v_fma_f64 v[11:12], v[14:15], s[14:15], v[11:12]
	;; [unrolled: 1-line block ×4, first 2 shown]
	v_add_f64 v[40:41], v[121:122], v[1:2]
	s_waitcnt lgkmcnt(3)
	v_add_f64 v[42:43], v[3:4], -v[155:156]
	v_add_f64 v[34:35], v[34:35], v[36:37]
	v_add_f64 v[50:51], v[1:2], v[153:154]
	v_fma_f64 v[16:17], v[18:19], s[8:9], v[16:17]
	v_fma_f64 v[11:12], v[18:19], s[18:19], v[11:12]
	;; [unrolled: 1-line block ×3, first 2 shown]
	v_add_f64 v[24:25], v[26:27], v[28:29]
	v_add_f64 v[28:29], v[135:136], v[151:152]
	;; [unrolled: 1-line block ×3, first 2 shown]
	v_fma_f64 v[30:31], v[32:33], -0.5, v[131:132]
	v_add_f64 v[32:33], v[133:134], -v[149:150]
	v_fma_f64 v[14:15], v[14:15], s[18:19], v[20:21]
	v_fma_f64 v[16:17], v[22:23], s[12:13], v[16:17]
	v_fma_f64 v[11:12], v[22:23], s[12:13], v[11:12]
	v_add_f64 v[20:21], v[137:138], -v[141:142]
	v_fma_f64 v[22:23], v[28:29], -0.5, v[131:132]
	v_fma_f64 v[18:19], v[24:25], s[12:13], v[18:19]
	v_add_f64 v[46:47], v[127:128], -v[147:148]
	v_fma_f64 v[28:29], v[32:33], s[14:15], v[30:31]
	v_fma_f64 v[30:31], v[32:33], s[6:7], v[30:31]
	v_fma_f64 v[14:15], v[24:25], s[12:13], v[14:15]
	v_add_f64 v[24:25], v[125:126], v[145:146]
	v_add_f64 v[48:49], v[1:2], -v[125:126]
	v_fma_f64 v[38:39], v[20:21], s[6:7], v[22:23]
	v_add_f64 v[52:53], v[153:154], -v[145:146]
	v_add_f64 v[54:55], v[125:126], -v[145:146]
	v_fma_f64 v[28:29], v[20:21], s[18:19], v[28:29]
	v_fma_f64 v[30:31], v[20:21], s[8:9], v[30:31]
	;; [unrolled: 1-line block ×3, first 2 shown]
	v_fma_f64 v[24:25], v[24:25], -0.5, v[121:122]
	v_add_f64 v[22:23], v[40:41], v[125:126]
	v_fma_f64 v[36:37], v[32:33], s[18:19], v[38:39]
	v_add_f64 v[38:39], v[139:140], -v[135:136]
	v_add_f64 v[56:57], v[145:146], -v[153:154]
	v_fma_f64 v[28:29], v[34:35], s[12:13], v[28:29]
	v_fma_f64 v[30:31], v[34:35], s[12:13], v[30:31]
	;; [unrolled: 1-line block ×4, first 2 shown]
	v_fma_f64 v[34:35], v[50:51], -0.5, v[121:122]
	v_fma_f64 v[24:25], v[42:43], s[14:15], v[24:25]
	v_add_f64 v[38:39], v[38:39], v[44:45]
	v_add_f64 v[44:45], v[127:128], v[147:148]
	;; [unrolled: 1-line block ×3, first 2 shown]
	v_add_f64 v[60:61], v[127:128], -v[3:4]
	v_add_f64 v[62:63], v[147:148], -v[155:156]
	v_fma_f64 v[32:33], v[46:47], s[8:9], v[40:41]
	v_add_f64 v[40:41], v[48:49], v[52:53]
	v_fma_f64 v[48:49], v[46:47], s[14:15], v[34:35]
	v_fma_f64 v[36:37], v[38:39], s[12:13], v[36:37]
	;; [unrolled: 1-line block ×3, first 2 shown]
	v_add_f64 v[38:39], v[3:4], v[155:156]
	v_fma_f64 v[44:45], v[44:45], -0.5, v[123:124]
	v_add_f64 v[52:53], v[1:2], -v[153:154]
	v_fma_f64 v[24:25], v[46:47], s[18:19], v[24:25]
	v_add_f64 v[0:1], v[125:126], -v[1:2]
	v_fma_f64 v[34:35], v[46:47], s[6:7], v[34:35]
	v_add_f64 v[46:47], v[50:51], v[127:128]
	v_fma_f64 v[48:49], v[42:43], s[8:9], v[48:49]
	v_fma_f64 v[38:39], v[38:39], -0.5, v[123:124]
	v_add_f64 v[2:3], v[3:4], -v[127:128]
	v_fma_f64 v[50:51], v[52:53], s[14:15], v[44:45]
	v_add_f64 v[64:65], v[155:156], -v[147:148]
	v_add_f64 v[0:1], v[0:1], v[56:57]
	v_fma_f64 v[34:35], v[42:43], s[18:19], v[34:35]
	v_add_f64 v[42:43], v[46:47], v[147:148]
	v_add_f64 v[56:57], v[60:61], v[62:63]
	v_fma_f64 v[58:59], v[54:55], s[6:7], v[38:39]
	v_fma_f64 v[38:39], v[54:55], s[14:15], v[38:39]
	v_add_f64 v[5:6], v[129:130], v[133:134]
	v_fma_f64 v[32:33], v[40:41], s[12:13], v[32:33]
	v_fma_f64 v[50:51], v[54:55], s[18:19], v[50:51]
	v_add_f64 v[2:3], v[2:3], v[64:65]
	v_fma_f64 v[24:25], v[40:41], s[12:13], v[24:25]
	v_fma_f64 v[40:41], v[0:1], s[12:13], v[48:49]
	v_fma_f64 v[46:47], v[52:53], s[18:19], v[58:59]
	v_fma_f64 v[38:39], v[52:53], s[8:9], v[38:39]
	;; [unrolled: 1-line block ×3, first 2 shown]
	v_add_f64 v[5:6], v[5:6], v[137:138]
	v_fma_f64 v[44:45], v[52:53], s[6:7], v[44:45]
	v_add_f64 v[22:23], v[22:23], v[145:146]
	v_mul_f64 v[48:49], v[32:33], s[24:25]
	ds_read_b128 v[85:88], v253 offset:1792
	v_fma_f64 v[34:35], v[56:57], s[12:13], v[46:47]
	v_fma_f64 v[46:47], v[2:3], s[12:13], v[50:51]
	;; [unrolled: 1-line block ×3, first 2 shown]
	v_mul_f64 v[52:53], v[0:1], s[22:23]
	v_add_f64 v[5:6], v[5:6], v[141:142]
	v_fma_f64 v[44:45], v[54:55], s[8:9], v[44:45]
	ds_read_b128 v[105:108], v253 offset:2304
	ds_read_b128 v[89:92], v253 offset:2816
	;; [unrolled: 1-line block ×4, first 2 shown]
	v_add_f64 v[22:23], v[22:23], v[153:154]
	v_mul_f64 v[50:51], v[34:35], s[6:7]
	v_fma_f64 v[48:49], v[46:47], s[8:9], v[48:49]
	ds_read_b128 v[117:120], v253 offset:4352
	ds_read_b128 v[97:100], v253 offset:4864
	v_fma_f64 v[52:53], v[38:39], s[6:7], v[52:53]
	v_mul_f64 v[38:39], v[38:39], s[22:23]
	v_add_f64 v[5:6], v[5:6], v[149:150]
	v_fma_f64 v[2:3], v[2:3], s[12:13], v[44:45]
	v_mul_f64 v[44:45], v[24:25], s[20:21]
	v_fma_f64 v[50:51], v[40:41], s[12:13], v[50:51]
	v_mul_f64 v[40:41], v[40:41], s[14:15]
	v_add_f64 v[137:138], v[16:17], v[48:49]
	v_add_f64 v[145:146], v[16:17], -v[48:49]
	v_fma_f64 v[0:1], v[0:1], s[14:15], v[38:39]
	s_waitcnt lgkmcnt(7)
	v_add_f64 v[38:39], v[113:114], v[101:102]
	v_add_f64 v[121:122], v[5:6], v[22:23]
	v_mul_f64 v[54:55], v[2:3], s[20:21]
	v_fma_f64 v[2:3], v[2:3], s[8:9], v[44:45]
	v_fma_f64 v[34:35], v[34:35], s[12:13], v[40:41]
	s_waitcnt lgkmcnt(3)
	v_add_f64 v[40:41], v[105:106], v[109:110]
	v_add_f64 v[153:154], v[5:6], -v[22:23]
	s_waitcnt lgkmcnt(1)
	v_add_f64 v[16:17], v[103:104], -v[119:120]
	v_add_f64 v[4:5], v[38:39], v[105:106]
	v_add_f64 v[26:27], v[26:27], v[143:144]
	v_mul_f64 v[32:33], v[32:33], s[18:19]
	v_add_f64 v[125:126], v[14:15], v[52:53]
	v_add_f64 v[133:134], v[11:12], v[2:3]
	v_fma_f64 v[6:7], v[40:41], -0.5, v[113:114]
	v_add_f64 v[149:150], v[14:15], -v[52:53]
	v_add_f64 v[141:142], v[11:12], -v[2:3]
	v_add_f64 v[2:3], v[101:102], v[117:118]
	v_add_f64 v[4:5], v[4:5], v[109:110]
	v_add_f64 v[14:15], v[107:108], -v[111:112]
	v_add_f64 v[26:27], v[26:27], v[151:152]
	v_add_f64 v[42:43], v[42:43], v[155:156]
	v_fma_f64 v[11:12], v[16:17], s[6:7], v[6:7]
	v_add_f64 v[129:130], v[18:19], v[50:51]
	v_fma_f64 v[32:33], v[46:47], s[24:25], v[32:33]
	v_fma_f64 v[24:25], v[24:25], s[18:19], v[54:55]
	v_add_f64 v[127:128], v[20:21], v[0:1]
	v_add_f64 v[157:158], v[18:19], -v[50:51]
	v_add_f64 v[18:19], v[101:102], -v[105:106]
	;; [unrolled: 1-line block ×4, first 2 shown]
	v_fma_f64 v[0:1], v[2:3], -0.5, v[113:114]
	v_add_f64 v[20:21], v[4:5], v[117:118]
	v_fma_f64 v[2:3], v[14:15], s[8:9], v[11:12]
	v_add_f64 v[4:5], v[115:116], v[103:104]
	v_add_f64 v[11:12], v[107:108], v[111:112]
	;; [unrolled: 1-line block ×5, first 2 shown]
	v_add_f64 v[155:156], v[26:27], -v[42:43]
	v_add_f64 v[147:148], v[28:29], -v[32:33]
	;; [unrolled: 1-line block ×3, first 2 shown]
	v_add_f64 v[18:19], v[18:19], v[22:23]
	v_fma_f64 v[6:7], v[16:17], s[14:15], v[6:7]
	v_fma_f64 v[22:23], v[14:15], s[14:15], v[0:1]
	v_add_f64 v[24:25], v[105:106], -v[101:102]
	v_add_f64 v[26:27], v[109:110], -v[117:118]
	v_fma_f64 v[0:1], v[14:15], s[6:7], v[0:1]
	v_add_f64 v[4:5], v[4:5], v[107:108]
	v_fma_f64 v[11:12], v[11:12], -0.5, v[115:116]
	v_add_f64 v[28:29], v[101:102], -v[117:118]
	v_fma_f64 v[30:31], v[18:19], s[12:13], v[2:3]
	v_fma_f64 v[2:3], v[14:15], s[18:19], v[6:7]
	;; [unrolled: 1-line block ×3, first 2 shown]
	v_add_f64 v[14:15], v[24:25], v[26:27]
	v_fma_f64 v[0:1], v[16:17], s[18:19], v[0:1]
	v_add_f64 v[16:17], v[103:104], v[119:120]
	v_add_f64 v[4:5], v[4:5], v[111:112]
	v_fma_f64 v[22:23], v[28:29], s[14:15], v[11:12]
	v_add_f64 v[24:25], v[105:106], -v[109:110]
	v_fma_f64 v[18:19], v[18:19], s[12:13], v[2:3]
	v_add_f64 v[2:3], v[103:104], -v[107:108]
	v_add_f64 v[26:27], v[119:120], -v[111:112]
	v_fma_f64 v[6:7], v[14:15], s[12:13], v[6:7]
	v_fma_f64 v[16:17], v[16:17], -0.5, v[115:116]
	v_fma_f64 v[14:15], v[14:15], s[12:13], v[0:1]
	v_add_f64 v[32:33], v[4:5], v[119:120]
	v_fma_f64 v[0:1], v[24:25], s[18:19], v[22:23]
	v_add_f64 v[4:5], v[93:94], v[85:86]
	v_add_f64 v[22:23], v[89:90], v[81:82]
	;; [unrolled: 1-line block ×3, first 2 shown]
	v_add_f64 v[159:160], v[36:37], -v[34:35]
	v_add_f64 v[2:3], v[2:3], v[26:27]
	v_fma_f64 v[11:12], v[28:29], s[6:7], v[11:12]
	v_fma_f64 v[26:27], v[24:25], s[6:7], v[16:17]
	v_add_f64 v[34:35], v[107:108], -v[103:104]
	v_add_f64 v[36:37], v[111:112], -v[119:120]
	v_fma_f64 v[16:17], v[24:25], s[14:15], v[16:17]
	v_add_f64 v[4:5], v[4:5], v[89:90]
	v_fma_f64 v[22:23], v[22:23], -0.5, v[93:94]
	s_waitcnt lgkmcnt(0)
	v_add_f64 v[38:39], v[87:88], -v[99:100]
	v_fma_f64 v[40:41], v[2:3], s[12:13], v[0:1]
	v_fma_f64 v[0:1], v[24:25], s[8:9], v[11:12]
	;; [unrolled: 1-line block ×3, first 2 shown]
	v_add_f64 v[24:25], v[34:35], v[36:37]
	v_fma_f64 v[16:17], v[28:29], s[8:9], v[16:17]
	v_add_f64 v[4:5], v[4:5], v[81:82]
	v_add_f64 v[34:35], v[91:92], -v[83:84]
	v_fma_f64 v[28:29], v[38:39], s[6:7], v[22:23]
	v_add_f64 v[26:27], v[85:86], v[97:98]
	v_add_f64 v[36:37], v[85:86], -v[89:90]
	v_add_f64 v[42:43], v[97:98], -v[81:82]
	v_fma_f64 v[11:12], v[24:25], s[12:13], v[11:12]
	v_fma_f64 v[16:17], v[24:25], s[12:13], v[16:17]
	v_add_f64 v[24:25], v[4:5], v[97:98]
	v_fma_f64 v[44:45], v[2:3], s[12:13], v[0:1]
	v_fma_f64 v[4:5], v[34:35], s[8:9], v[28:29]
	v_add_f64 v[28:29], v[87:88], v[99:100]
	v_add_f64 v[2:3], v[91:92], v[83:84]
	v_fma_f64 v[0:1], v[26:27], -0.5, v[93:94]
	v_fma_f64 v[22:23], v[38:39], s[14:15], v[22:23]
	v_add_f64 v[50:51], v[89:90], -v[81:82]
	v_add_f64 v[26:27], v[36:37], v[42:43]
	v_add_f64 v[42:43], v[89:90], -v[85:86]
	v_add_f64 v[46:47], v[81:82], -v[97:98]
	v_fma_f64 v[28:29], v[28:29], -0.5, v[95:96]
	v_fma_f64 v[2:3], v[2:3], -0.5, v[95:96]
	v_add_f64 v[48:49], v[85:86], -v[97:98]
	v_fma_f64 v[36:37], v[34:35], s[14:15], v[0:1]
	v_fma_f64 v[22:23], v[34:35], s[18:19], v[22:23]
	;; [unrolled: 1-line block ×3, first 2 shown]
	v_add_f64 v[34:35], v[95:96], v[87:88]
	v_add_f64 v[54:55], v[91:92], -v[87:88]
	v_fma_f64 v[52:53], v[50:51], s[6:7], v[28:29]
	v_add_f64 v[56:57], v[83:84], -v[99:100]
	v_fma_f64 v[28:29], v[50:51], s[14:15], v[28:29]
	v_add_f64 v[42:43], v[42:43], v[46:47]
	v_fma_f64 v[46:47], v[48:49], s[14:15], v[2:3]
	v_add_f64 v[58:59], v[87:88], -v[91:92]
	v_add_f64 v[60:61], v[99:100], -v[83:84]
	v_fma_f64 v[2:3], v[48:49], s[6:7], v[2:3]
	v_fma_f64 v[36:37], v[38:39], s[8:9], v[36:37]
	;; [unrolled: 1-line block ×3, first 2 shown]
	v_add_f64 v[34:35], v[34:35], v[91:92]
	v_fma_f64 v[38:39], v[48:49], s[18:19], v[52:53]
	v_add_f64 v[52:53], v[54:55], v[56:57]
	v_fma_f64 v[28:29], v[48:49], s[8:9], v[28:29]
	;; [unrolled: 2-line block ×3, first 2 shown]
	v_fma_f64 v[4:5], v[26:27], s[12:13], v[4:5]
	v_fma_f64 v[46:47], v[50:51], s[18:19], v[46:47]
	;; [unrolled: 1-line block ×3, first 2 shown]
	v_add_f64 v[26:27], v[34:35], v[83:84]
	v_fma_f64 v[34:35], v[42:43], s[12:13], v[36:37]
	v_fma_f64 v[36:37], v[52:53], s[12:13], v[38:39]
	;; [unrolled: 1-line block ×6, first 2 shown]
	v_mul_f64 v[46:47], v[4:5], s[24:25]
	v_mul_f64 v[3:4], v[4:5], s[18:19]
	v_mul_f64 v[56:57], v[34:35], s[14:15]
	v_mul_f64 v[50:51], v[36:37], s[6:7]
	v_mul_f64 v[52:53], v[38:39], s[22:23]
	v_mul_f64 v[58:59], v[28:29], s[22:23]
	v_mul_f64 v[54:55], v[22:23], s[20:21]
	v_mul_f64 v[60:61], v[48:49], s[20:21]
	v_add_f64 v[26:27], v[26:27], v[99:100]
	v_fma_f64 v[46:47], v[42:43], s[8:9], v[46:47]
	v_fma_f64 v[42:43], v[42:43], s[24:25], v[3:4]
	;; [unrolled: 1-line block ×8, first 2 shown]
	v_add_f64 v[1:2], v[20:21], v[24:25]
	v_add_f64 v[3:4], v[32:33], v[26:27]
	v_add_f64 v[81:82], v[30:31], v[46:47]
	v_add_f64 v[83:84], v[40:41], v[42:43]
	v_add_f64 v[85:86], v[6:7], v[34:35]
	v_add_f64 v[87:88], v[11:12], v[36:37]
	v_add_f64 v[89:90], v[14:15], v[28:29]
	v_add_f64 v[91:92], v[16:17], v[38:39]
	v_add_f64 v[93:94], v[18:19], v[48:49]
	v_add_f64 v[95:96], v[44:45], v[22:23]
	v_add_f64 v[97:98], v[20:21], -v[24:25]
	v_add_f64 v[99:100], v[32:33], -v[26:27]
	v_mul_u32_u24_e32 v0, 10, v66
	v_add_f64 v[101:102], v[30:31], -v[46:47]
	v_add_f64 v[103:104], v[40:41], -v[42:43]
	v_add_lshl_u32 v255, v8, v0, 4
	v_mul_u32_u24_e32 v0, 10, v10
	v_add_f64 v[105:106], v[6:7], -v[34:35]
	v_add_f64 v[109:110], v[14:15], -v[28:29]
	;; [unrolled: 1-line block ×3, first 2 shown]
	v_add_lshl_u32 v14, v8, v0, 4
	v_add_u32_e32 v0, -10, v66
	v_add_f64 v[113:114], v[18:19], -v[48:49]
	v_add_f64 v[111:112], v[16:17], -v[38:39]
	;; [unrolled: 1-line block ×3, first 2 shown]
	s_waitcnt lgkmcnt(0)
	; wave barrier
	ds_write_b128 v255, v[121:124]
	ds_write_b128 v255, v[137:140] offset:16
	ds_write_b128 v255, v[129:132] offset:32
	;; [unrolled: 1-line block ×9, first 2 shown]
	ds_write_b128 v14, v[1:4]
	ds_write_b128 v14, v[81:84] offset:16
	ds_write_b128 v14, v[85:88] offset:32
	;; [unrolled: 1-line block ×9, first 2 shown]
	v_cndmask_b32_e32 v4, v0, v66, vcc
	v_mul_i32_i24_e32 v1, 48, v4
	v_mul_hi_i32_i24_e32 v0, 48, v4
	v_add_co_u32_e32 v5, vcc, s10, v1
	v_mov_b32_e32 v1, s11
	v_addc_co_u32_e32 v6, vcc, v1, v0, vcc
	s_waitcnt lgkmcnt(0)
	; wave barrier
	s_waitcnt lgkmcnt(0)
	global_load_dwordx4 v[81:84], v[5:6], off offset:16
	global_load_dwordx4 v[85:88], v[5:6], off
	global_load_dwordx4 v[89:92], v[5:6], off offset:32
	v_mul_lo_u16_e32 v0, 26, v10
	v_lshrrev_b16_e32 v2, 8, v0
	v_mad_u64_u32 v[5:6], s[2:3], s3, v201, v[161:162]
	v_mul_lo_u16_e32 v0, 10, v2
	v_sub_u16_e32 v3, v10, v0
	v_and_b32_e32 v0, 0xff, v3
	v_or_b32_e32 v201, 32, v66
	v_mad_u64_u32 v[15:16], s[26:27], v0, 48, s[10:11]
	buffer_store_dword v5, off, s[28:31], 0 offset:328 ; 4-byte Folded Spill
	s_nop 0
	buffer_store_dword v6, off, s[28:31], 0 offset:332 ; 4-byte Folded Spill
	v_mul_lo_u16_e32 v10, 26, v201
	v_mov_b32_e32 v0, 10
	v_mul_lo_u16_sdwa v5, v10, v0 dst_sel:DWORD dst_unused:UNUSED_PAD src0_sel:BYTE_1 src1_sel:DWORD
	v_sub_u16_e32 v5, v201, v5
	v_or_b32_e32 v7, 48, v9
	v_and_b32_e32 v11, 0xff, v5
	v_mul_lo_u16_e32 v12, 26, v7
	v_mad_u64_u32 v[5:6], s[2:3], v11, 48, s[10:11]
	v_mul_lo_u16_sdwa v0, v12, v0 dst_sel:DWORD dst_unused:UNUSED_PAD src0_sel:BYTE_1 src1_sel:DWORD
	v_sub_u16_e32 v0, v7, v0
	v_and_b32_e32 v141, 0xff, v0
	global_load_dwordx4 v[97:100], v[15:16], off
	global_load_dwordx4 v[93:96], v[15:16], off offset:16
	global_load_dwordx4 v[101:104], v[15:16], off offset:32
	global_load_dwordx4 v[109:112], v[5:6], off
	global_load_dwordx4 v[105:108], v[5:6], off offset:16
	v_mad_u64_u32 v[15:16], s[2:3], v141, 48, s[10:11]
	v_or_b32_e32 v0, 64, v77
	global_load_dwordx4 v[117:120], v[5:6], off offset:32
	global_load_dwordx4 v[125:128], v[15:16], off
	global_load_dwordx4 v[121:124], v[15:16], off offset:16
	global_load_dwordx4 v[113:116], v[15:16], off offset:32
	v_mul_lo_u16_e32 v5, 0x67, v0
	v_lshrrev_b16_e32 v142, 10, v5
	v_mul_lo_u16_e32 v5, 10, v142
	v_sub_u16_e32 v0, v0, v5
	v_and_b32_e32 v143, 0xff, v0
	v_mad_u64_u32 v[5:6], s[2:3], v143, 48, s[10:11]
	global_load_dwordx4 v[137:140], v[5:6], off
	global_load_dwordx4 v[133:136], v[5:6], off offset:16
	global_load_dwordx4 v[129:132], v[5:6], off offset:32
	ds_read_b128 v[144:147], v254
	ds_read_b128 v[148:151], v254 offset:1280
	ds_read_b128 v[152:155], v254 offset:2560
	;; [unrolled: 1-line block ×14, first 2 shown]
	v_cmp_lt_u32_e32 vcc, 9, v77
	v_cndmask_b32_e64 v0, 0, 40, vcc
	v_add_u32_e32 v0, v4, v0
	v_add_lshl_u32 v0, v8, v0, 4
	v_cmp_gt_u64_e32 vcc, 40, v[201:202]
	s_waitcnt vmcnt(16) lgkmcnt(12)
	v_mul_f64 v[17:18], v[154:155], v[83:84]
	s_waitcnt vmcnt(15)
	v_mul_f64 v[5:6], v[150:151], v[87:88]
	v_mul_f64 v[15:16], v[148:149], v[87:88]
	v_mul_f64 v[19:20], v[152:153], v[83:84]
	s_waitcnt vmcnt(14) lgkmcnt(11)
	v_mul_f64 v[21:22], v[158:159], v[91:92]
	v_mul_f64 v[23:24], v[156:157], v[91:92]
	v_fma_f64 v[17:18], v[152:153], v[81:82], -v[17:18]
	v_fma_f64 v[5:6], v[148:149], v[85:86], -v[5:6]
	v_fma_f64 v[15:16], v[150:151], v[85:86], v[15:16]
	ds_read_b128 v[148:151], v254 offset:4864
	v_fma_f64 v[19:20], v[154:155], v[81:82], v[19:20]
	v_fma_f64 v[21:22], v[156:157], v[89:90], -v[21:22]
	v_fma_f64 v[23:24], v[158:159], v[89:90], v[23:24]
	ds_read_b128 v[152:155], v254 offset:256
	ds_read_b128 v[156:159], v254 offset:512
	v_add_f64 v[17:18], v[144:145], -v[17:18]
	v_add_f64 v[19:20], v[146:147], -v[19:20]
	;; [unrolled: 1-line block ×4, first 2 shown]
	v_fma_f64 v[65:66], v[144:145], 2.0, -v[17:18]
	s_waitcnt vmcnt(11) lgkmcnt(13)
	v_mul_f64 v[25:26], v[162:163], v[99:100]
	v_mul_f64 v[27:28], v[160:161], v[99:100]
	v_fma_f64 v[67:68], v[146:147], 2.0, -v[19:20]
	v_fma_f64 v[5:6], v[5:6], 2.0, -v[21:22]
	;; [unrolled: 1-line block ×3, first 2 shown]
	s_waitcnt vmcnt(10) lgkmcnt(12)
	v_mul_f64 v[29:30], v[166:167], v[95:96]
	v_mul_f64 v[31:32], v[164:165], v[95:96]
	s_waitcnt vmcnt(9) lgkmcnt(11)
	v_mul_f64 v[33:34], v[170:171], v[103:104]
	v_fma_f64 v[25:26], v[160:161], v[97:98], -v[25:26]
	v_mul_f64 v[35:36], v[168:169], v[103:104]
	v_fma_f64 v[27:28], v[162:163], v[97:98], v[27:28]
	v_add_f64 v[144:145], v[65:66], -v[5:6]
	v_add_f64 v[146:147], v[67:68], -v[15:16]
	v_fma_f64 v[29:30], v[164:165], v[93:94], -v[29:30]
	v_fma_f64 v[31:32], v[166:167], v[93:94], v[31:32]
	s_waitcnt vmcnt(1) lgkmcnt(3)
	v_mul_f64 v[69:70], v[205:206], v[135:136]
	v_mul_f64 v[71:72], v[203:204], v[135:136]
	s_waitcnt vmcnt(0) lgkmcnt(2)
	v_mul_f64 v[73:74], v[150:151], v[131:132]
	v_mul_f64 v[75:76], v[148:149], v[131:132]
	v_fma_f64 v[33:34], v[168:169], v[101:102], -v[33:34]
	ds_read_b128 v[160:163], v254 offset:768
	ds_read_b128 v[164:167], v254 offset:1024
	s_waitcnt lgkmcnt(0)
	v_fma_f64 v[5:6], v[203:204], v[133:134], -v[69:70]
	v_fma_f64 v[15:16], v[205:206], v[133:134], v[71:72]
	v_fma_f64 v[69:70], v[148:149], v[129:130], -v[73:74]
	v_fma_f64 v[71:72], v[150:151], v[129:130], v[75:76]
	v_fma_f64 v[148:149], v[65:66], 2.0, -v[144:145]
	v_fma_f64 v[150:151], v[67:68], 2.0, -v[146:147]
	; wave barrier
	v_mul_f64 v[37:38], v[174:175], v[111:112]
	v_mul_f64 v[39:40], v[172:173], v[111:112]
	;; [unrolled: 1-line block ×3, first 2 shown]
	v_fma_f64 v[35:36], v[170:171], v[101:102], v[35:36]
	v_mul_f64 v[45:46], v[182:183], v[119:120]
	v_mul_f64 v[47:48], v[180:181], v[119:120]
	ds_write_b128 v0, v[148:151]
	v_add_f64 v[148:149], v[17:18], -v[23:24]
	v_add_f64 v[150:151], v[19:20], v[21:22]
	v_fma_f64 v[37:38], v[172:173], v[109:110], -v[37:38]
	v_mul_f64 v[43:44], v[176:177], v[107:108]
	v_fma_f64 v[39:40], v[174:175], v[109:110], v[39:40]
	v_fma_f64 v[41:42], v[176:177], v[105:106], -v[41:42]
	v_fma_f64 v[45:46], v[180:181], v[117:118], -v[45:46]
	v_fma_f64 v[47:48], v[182:183], v[117:118], v[47:48]
	v_fma_f64 v[168:169], v[17:18], 2.0, -v[148:149]
	v_add_f64 v[17:18], v[152:153], -v[29:30]
	v_add_f64 v[29:30], v[25:26], -v[33:34]
	v_fma_f64 v[170:171], v[19:20], 2.0, -v[150:151]
	v_add_f64 v[19:20], v[154:155], -v[31:32]
	v_add_f64 v[31:32], v[27:28], -v[35:36]
	v_mul_f64 v[49:50], v[186:187], v[127:128]
	v_mul_f64 v[53:54], v[190:191], v[123:124]
	v_fma_f64 v[43:44], v[178:179], v[105:106], v[43:44]
	v_fma_f64 v[21:22], v[152:153], 2.0, -v[17:18]
	v_fma_f64 v[25:26], v[25:26], 2.0, -v[29:30]
	v_mul_f64 v[57:58], v[194:195], v[115:116]
	v_fma_f64 v[23:24], v[154:155], 2.0, -v[19:20]
	v_fma_f64 v[27:28], v[27:28], 2.0, -v[31:32]
	v_add_f64 v[33:34], v[37:38], -v[45:46]
	v_add_f64 v[35:36], v[39:40], -v[47:48]
	v_mul_f64 v[51:52], v[184:185], v[127:128]
	v_mul_f64 v[55:56], v[188:189], v[123:124]
	v_add_f64 v[152:153], v[21:22], -v[25:26]
	v_add_f64 v[25:26], v[156:157], -v[41:42]
	v_fma_f64 v[49:50], v[184:185], v[125:126], -v[49:50]
	v_fma_f64 v[53:54], v[188:189], v[121:122], -v[53:54]
	v_mul_f64 v[59:60], v[192:193], v[115:116]
	v_fma_f64 v[57:58], v[192:193], v[113:114], -v[57:58]
	v_add_f64 v[154:155], v[23:24], -v[27:28]
	v_add_f64 v[172:173], v[17:18], -v[31:32]
	v_add_f64 v[174:175], v[19:20], v[29:30]
	v_add_f64 v[27:28], v[158:159], -v[43:44]
	v_fma_f64 v[29:30], v[156:157], 2.0, -v[25:26]
	v_fma_f64 v[37:38], v[37:38], 2.0, -v[33:34]
	v_add_f64 v[176:177], v[25:26], -v[35:36]
	v_fma_f64 v[51:52], v[186:187], v[125:126], v[51:52]
	v_fma_f64 v[55:56], v[190:191], v[121:122], v[55:56]
	v_mul_f64 v[61:62], v[198:199], v[139:140]
	v_fma_f64 v[59:60], v[194:195], v[113:114], v[59:60]
	v_mul_f64 v[63:64], v[196:197], v[139:140]
	v_fma_f64 v[31:32], v[158:159], 2.0, -v[27:28]
	v_fma_f64 v[39:40], v[39:40], 2.0, -v[35:36]
	v_add_f64 v[156:157], v[29:30], -v[37:38]
	v_add_f64 v[178:179], v[27:28], v[33:34]
	v_fma_f64 v[184:185], v[17:18], 2.0, -v[172:173]
	v_fma_f64 v[192:193], v[25:26], 2.0, -v[176:177]
	v_add_f64 v[17:18], v[160:161], -v[53:54]
	v_add_f64 v[25:26], v[49:50], -v[57:58]
	v_fma_f64 v[61:62], v[196:197], v[137:138], -v[61:62]
	v_fma_f64 v[63:64], v[198:199], v[137:138], v[63:64]
	v_add_f64 v[158:159], v[31:32], -v[39:40]
	v_fma_f64 v[180:181], v[21:22], 2.0, -v[152:153]
	v_fma_f64 v[186:187], v[19:20], 2.0, -v[174:175]
	v_fma_f64 v[188:189], v[29:30], 2.0, -v[156:157]
	v_fma_f64 v[194:195], v[27:28], 2.0, -v[178:179]
	v_add_f64 v[19:20], v[162:163], -v[55:56]
	v_fma_f64 v[21:22], v[160:161], 2.0, -v[17:18]
	v_add_f64 v[27:28], v[51:52], -v[59:60]
	v_fma_f64 v[29:30], v[49:50], 2.0, -v[25:26]
	v_fma_f64 v[182:183], v[23:24], 2.0, -v[154:155]
	;; [unrolled: 1-line block ×3, first 2 shown]
	v_add_f64 v[4:5], v[164:165], -v[5:6]
	v_add_f64 v[6:7], v[166:167], -v[15:16]
	v_fma_f64 v[23:24], v[162:163], 2.0, -v[19:20]
	v_add_f64 v[198:199], v[19:20], v[25:26]
	v_fma_f64 v[31:32], v[51:52], 2.0, -v[27:28]
	v_add_f64 v[160:161], v[21:22], -v[29:30]
	v_add_f64 v[196:197], v[17:18], -v[27:28]
	;; [unrolled: 1-line block ×4, first 2 shown]
	v_fma_f64 v[15:16], v[164:165], 2.0, -v[4:5]
	v_fma_f64 v[25:26], v[166:167], 2.0, -v[6:7]
	buffer_store_dword v0, off, s[28:31], 0 offset:348 ; 4-byte Folded Spill
	v_add_f64 v[162:163], v[23:24], -v[31:32]
	ds_write_b128 v0, v[168:171] offset:160
	ds_write_b128 v0, v[144:147] offset:320
	;; [unrolled: 1-line block ×3, first 2 shown]
	v_mad_legacy_u16 v0, v2, 40, v3
	v_fma_f64 v[31:32], v[61:62], 2.0, -v[27:28]
	v_fma_f64 v[33:34], v[63:64], 2.0, -v[29:30]
	v_add_f64 v[203:204], v[4:5], -v[29:30]
	v_add_f64 v[205:206], v[6:7], v[27:28]
	v_fma_f64 v[207:208], v[21:22], 2.0, -v[160:161]
	v_fma_f64 v[209:210], v[23:24], 2.0, -v[162:163]
	v_and_b32_e32 v0, 0xff, v0
	v_fma_f64 v[211:212], v[17:18], 2.0, -v[196:197]
	v_add_f64 v[164:165], v[15:16], -v[31:32]
	v_add_f64 v[166:167], v[25:26], -v[33:34]
	v_fma_f64 v[213:214], v[19:20], 2.0, -v[198:199]
	v_fma_f64 v[219:220], v[4:5], 2.0, -v[203:204]
	;; [unrolled: 1-line block ×3, first 2 shown]
	v_add_lshl_u32 v0, v8, v0, 4
	buffer_store_dword v0, off, s[28:31], 0 offset:344 ; 4-byte Folded Spill
	ds_write_b128 v0, v[180:183]
	ds_write_b128 v0, v[184:187] offset:160
	ds_write_b128 v0, v[152:155] offset:320
	;; [unrolled: 1-line block ×3, first 2 shown]
	v_fma_f64 v[215:216], v[15:16], 2.0, -v[164:165]
	v_fma_f64 v[217:218], v[25:26], 2.0, -v[166:167]
	v_mov_b32_e32 v0, 40
	v_mul_u32_u24_sdwa v2, v10, v0 dst_sel:DWORD dst_unused:UNUSED_PAD src0_sel:BYTE_1 src1_sel:DWORD
	v_mul_u32_u24_sdwa v0, v12, v0 dst_sel:DWORD dst_unused:UNUSED_PAD src0_sel:BYTE_1 src1_sel:DWORD
	v_add_u32_e32 v0, v0, v141
	v_mad_u64_u32 v[5:6], s[2:3], v77, 48, s[10:11]
	v_add_lshl_u32 v78, v8, v0, 4
	v_mul_u32_u24_e32 v0, 40, v142
	v_add_u32_e32 v2, v2, v11
	v_add_u32_e32 v0, v0, v143
	v_add_lshl_u32 v2, v8, v2, 4
	v_add_lshl_u32 v0, v8, v0, 4
	buffer_store_dword v2, off, s[28:31], 0 offset:340 ; 4-byte Folded Spill
	ds_write_b128 v2, v[188:191]
	ds_write_b128 v2, v[192:195] offset:160
	ds_write_b128 v2, v[156:159] offset:320
	;; [unrolled: 1-line block ×3, first 2 shown]
	ds_write_b128 v78, v[207:210]
	ds_write_b128 v78, v[211:214] offset:160
	ds_write_b128 v78, v[160:163] offset:320
	;; [unrolled: 1-line block ×3, first 2 shown]
	ds_write_b128 v0, v[215:218]
	ds_write_b128 v0, v[219:222] offset:160
	ds_write_b128 v0, v[164:167] offset:320
	buffer_store_dword v0, off, s[28:31], 0 offset:352 ; 4-byte Folded Spill
	buffer_store_dword v77, off, s[28:31], 0 offset:336 ; 4-byte Folded Spill
	ds_write_b128 v0, v[203:206] offset:480
	s_waitcnt lgkmcnt(0)
	; wave barrier
	s_waitcnt lgkmcnt(0)
	global_load_dwordx4 v[153:156], v[5:6], off offset:480
	global_load_dwordx4 v[145:148], v[5:6], off offset:496
	;; [unrolled: 1-line block ×6, first 2 shown]
	v_add_u32_e32 v0, -8, v77
	v_cndmask_b32_e32 v4, v0, v201, vcc
	v_mul_i32_i24_e32 v2, 48, v4
	v_mul_hi_i32_i24_e32 v0, 48, v4
	v_add_co_u32_e32 v2, vcc, s10, v2
	v_addc_co_u32_e32 v3, vcc, v1, v0, vcc
	global_load_dwordx4 v[173:176], v[2:3], off offset:480
	global_load_dwordx4 v[169:172], v[2:3], off offset:496
	;; [unrolled: 1-line block ×3, first 2 shown]
	ds_read_b128 v[177:180], v254 offset:1280
	ds_read_b128 v[181:184], v254 offset:2560
	ds_read_b128 v[185:188], v254 offset:3840
	ds_read_b128 v[189:192], v254 offset:1536
	ds_read_b128 v[193:196], v254 offset:2816
	ds_read_b128 v[197:200], v254 offset:4096
	ds_read_b128 v[203:206], v254 offset:1792
	ds_read_b128 v[225:228], v254 offset:4864
	v_cmp_lt_u64_e32 vcc, 39, v[201:202]
	v_mov_b32_e32 v0, 0xa0
	v_cndmask_b32_e32 v0, 0, v0, vcc
	v_add_u32_e32 v0, v0, v4
	v_add_lshl_u32 v73, v8, v0, 4
	v_add_co_u32_e32 v0, vcc, s10, v13
	s_movk_i32 s2, 0x1000
	v_addc_co_u32_e32 v1, vcc, 0, v1, vcc
	s_waitcnt vmcnt(8) lgkmcnt(7)
	v_mul_f64 v[2:3], v[179:180], v[155:156]
	s_waitcnt vmcnt(7) lgkmcnt(6)
	v_mul_f64 v[11:12], v[183:184], v[147:148]
	v_mul_f64 v[15:16], v[181:182], v[147:148]
	s_waitcnt vmcnt(5) lgkmcnt(4)
	v_mul_f64 v[21:22], v[191:192], v[163:164]
	;; [unrolled: 3-line block ×3, first 2 shown]
	v_mul_f64 v[9:10], v[177:178], v[155:156]
	s_waitcnt vmcnt(3)
	v_mul_f64 v[25:26], v[195:196], v[159:160]
	v_fma_f64 v[19:20], v[177:178], v[153:154], -v[2:3]
	v_mul_f64 v[2:3], v[185:186], v[143:144]
	v_fma_f64 v[11:12], v[181:182], v[145:146], -v[11:12]
	v_fma_f64 v[21:22], v[189:190], v[161:162], -v[21:22]
	v_fma_f64 v[23:24], v[191:192], v[161:162], v[23:24]
	global_load_dwordx4 v[189:192], v[5:6], off offset:864
	s_waitcnt vmcnt(3) lgkmcnt(1)
	v_mul_f64 v[33:34], v[205:206], v[175:176]
	v_mul_f64 v[35:36], v[203:204], v[175:176]
	v_fma_f64 v[15:16], v[183:184], v[145:146], v[15:16]
	v_fma_f64 v[29:30], v[187:188], v[141:142], v[2:3]
	v_mul_f64 v[2:3], v[199:200], v[151:152]
	ds_read_b128 v[181:184], v254 offset:4352
	v_fma_f64 v[31:32], v[199:200], v[149:150], v[31:32]
	v_fma_f64 v[9:10], v[179:180], v[153:154], v[9:10]
	v_fma_f64 v[223:224], v[203:204], v[173:174], -v[33:34]
	ds_read_b128 v[177:180], v254 offset:3072
	v_mul_f64 v[27:28], v[193:194], v[159:160]
	v_fma_f64 v[25:26], v[193:194], v[157:158], -v[25:26]
	v_fma_f64 v[37:38], v[197:198], v[149:150], -v[2:3]
	v_fma_f64 v[2:3], v[205:206], v[173:174], v[35:36]
	ds_read_b128 v[197:200], v254 offset:3584
	s_waitcnt vmcnt(1) lgkmcnt(2)
	v_mul_f64 v[33:34], v[183:184], v[167:168]
	v_mul_f64 v[35:36], v[181:182], v[167:168]
	;; [unrolled: 1-line block ×3, first 2 shown]
	v_fma_f64 v[27:28], v[195:196], v[157:158], v[27:28]
	ds_read_b128 v[193:196], v254 offset:2304
	v_add_f64 v[29:30], v[9:10], -v[29:30]
	v_fma_f64 v[211:212], v[181:182], v[165:166], -v[33:34]
	v_fma_f64 v[213:214], v[183:184], v[165:166], v[35:36]
	ds_read_b128 v[181:184], v254 offset:3328
	s_waitcnt lgkmcnt(3)
	v_mul_f64 v[39:40], v[179:180], v[171:172]
	v_mul_f64 v[41:42], v[177:178], v[171:172]
	v_fma_f64 v[17:18], v[185:186], v[141:142], -v[17:18]
	ds_read_b128 v[185:188], v254 offset:4608
	v_fma_f64 v[9:10], v[9:10], 2.0, -v[29:30]
	v_fma_f64 v[205:206], v[177:178], v[169:170], -v[39:40]
	v_fma_f64 v[207:208], v[179:180], v[169:170], v[41:42]
	ds_read_b128 v[177:180], v254 offset:2048
	v_add_f64 v[17:18], v[19:20], -v[17:18]
	v_fma_f64 v[19:20], v[19:20], 2.0, -v[17:18]
	s_waitcnt vmcnt(0) lgkmcnt(0)
	v_mul_f64 v[33:34], v[179:180], v[191:192]
	v_fma_f64 v[203:204], v[177:178], v[189:190], -v[33:34]
	v_mul_f64 v[33:34], v[177:178], v[191:192]
	v_fma_f64 v[209:210], v[179:180], v[189:190], v[33:34]
	global_load_dwordx4 v[177:180], v[5:6], off offset:880
	s_waitcnt vmcnt(0)
	v_mul_f64 v[33:34], v[183:184], v[179:180]
	v_fma_f64 v[215:216], v[181:182], v[177:178], -v[33:34]
	v_mul_f64 v[33:34], v[181:182], v[179:180]
	v_fma_f64 v[217:218], v[183:184], v[177:178], v[33:34]
	global_load_dwordx4 v[181:184], v[5:6], off offset:896
	s_waitcnt vmcnt(0)
	;; [unrolled: 6-line block ×3, first 2 shown]
	v_mul_f64 v[33:34], v[195:196], v[187:188]
	v_mul_f64 v[35:36], v[193:194], v[187:188]
	v_fma_f64 v[33:34], v[193:194], v[185:186], -v[33:34]
	v_fma_f64 v[35:36], v[195:196], v[185:186], v[35:36]
	global_load_dwordx4 v[193:196], v[5:6], off offset:1648
	s_waitcnt vmcnt(0)
	v_mul_f64 v[39:40], v[199:200], v[195:196]
	v_mul_f64 v[41:42], v[197:198], v[195:196]
	v_fma_f64 v[39:40], v[197:198], v[193:194], -v[39:40]
	v_fma_f64 v[41:42], v[199:200], v[193:194], v[41:42]
	global_load_dwordx4 v[197:200], v[5:6], off offset:1664
	s_waitcnt vmcnt(0)
	v_mul_f64 v[5:6], v[227:228], v[199:200]
	v_mul_f64 v[43:44], v[225:226], v[199:200]
	v_fma_f64 v[5:6], v[225:226], v[197:198], -v[5:6]
	v_fma_f64 v[43:44], v[227:228], v[197:198], v[43:44]
	ds_read_b128 v[225:228], v254
	ds_read_b128 v[233:236], v254 offset:256
	ds_read_b128 v[237:240], v254 offset:512
	;; [unrolled: 1-line block ×4, first 2 shown]
	s_waitcnt lgkmcnt(0)
	; wave barrier
	s_waitcnt lgkmcnt(0)
	v_add_f64 v[11:12], v[225:226], -v[11:12]
	v_add_f64 v[15:16], v[227:228], -v[15:16]
	;; [unrolled: 1-line block ×4, first 2 shown]
	v_fma_f64 v[45:46], v[225:226], 2.0, -v[11:12]
	v_fma_f64 v[47:48], v[227:228], 2.0, -v[15:16]
	v_add_f64 v[225:226], v[45:46], -v[19:20]
	v_add_f64 v[227:228], v[47:48], -v[9:10]
	;; [unrolled: 1-line block ×5, first 2 shown]
	v_fma_f64 v[229:230], v[45:46], 2.0, -v[225:226]
	v_fma_f64 v[231:232], v[47:48], 2.0, -v[227:228]
	;; [unrolled: 1-line block ×4, first 2 shown]
	ds_write_b128 v254, v[229:232]
	v_add_f64 v[229:230], v[11:12], -v[29:30]
	v_add_f64 v[231:232], v[15:16], v[17:18]
	v_fma_f64 v[241:242], v[11:12], 2.0, -v[229:230]
	v_add_f64 v[11:12], v[235:236], -v[27:28]
	v_fma_f64 v[243:244], v[15:16], 2.0, -v[231:232]
	v_fma_f64 v[15:16], v[233:234], 2.0, -v[9:10]
	ds_write_b128 v254, v[241:244] offset:640
	ds_write_b128 v254, v[225:228] offset:1280
	;; [unrolled: 1-line block ×3, first 2 shown]
	v_fma_f64 v[17:18], v[235:236], 2.0, -v[11:12]
	v_add_f64 v[225:226], v[15:16], -v[21:22]
	v_add_f64 v[21:22], v[2:3], -v[213:214]
	v_add_f64 v[227:228], v[17:18], -v[23:24]
	v_fma_f64 v[229:230], v[15:16], 2.0, -v[225:226]
	v_fma_f64 v[2:3], v[2:3], 2.0, -v[21:22]
	;; [unrolled: 1-line block ×3, first 2 shown]
	ds_write_b128 v254, v[229:232] offset:256
	v_add_f64 v[229:230], v[9:10], -v[25:26]
	v_add_f64 v[231:232], v[11:12], v[19:20]
	v_add_f64 v[19:20], v[223:224], -v[211:212]
	v_add_co_u32_e32 v25, vcc, s2, v0
	v_addc_co_u32_e32 v26, vcc, 0, v1, vcc
	v_fma_f64 v[233:234], v[9:10], 2.0, -v[229:230]
	v_fma_f64 v[235:236], v[11:12], 2.0, -v[231:232]
	v_add_f64 v[9:10], v[237:238], -v[205:206]
	v_add_f64 v[11:12], v[239:240], -v[207:208]
	v_fma_f64 v[23:24], v[223:224], 2.0, -v[19:20]
	ds_write_b128 v254, v[233:236] offset:896
	ds_write_b128 v254, v[225:228] offset:1536
	ds_write_b128 v254, v[229:232] offset:2176
	v_fma_f64 v[15:16], v[237:238], 2.0, -v[9:10]
	v_fma_f64 v[17:18], v[239:240], 2.0, -v[11:12]
	v_add_f64 v[205:206], v[15:16], -v[23:24]
	v_add_f64 v[207:208], v[17:18], -v[2:3]
	;; [unrolled: 1-line block ×3, first 2 shown]
	v_fma_f64 v[211:212], v[15:16], 2.0, -v[205:206]
	v_fma_f64 v[213:214], v[17:18], 2.0, -v[207:208]
	v_add_f64 v[15:16], v[203:204], -v[219:220]
	v_add_f64 v[17:18], v[209:210], -v[221:222]
	ds_write_b128 v73, v[211:214]
	v_add_f64 v[211:212], v[9:10], -v[21:22]
	v_add_f64 v[213:214], v[11:12], v[19:20]
	v_fma_f64 v[19:20], v[203:204], 2.0, -v[15:16]
	v_fma_f64 v[21:22], v[209:210], 2.0, -v[17:18]
	v_fma_f64 v[223:224], v[9:10], 2.0, -v[211:212]
	v_fma_f64 v[225:226], v[11:12], 2.0, -v[213:214]
	v_fma_f64 v[9:10], v[245:246], 2.0, -v[2:3]
	v_fma_f64 v[11:12], v[247:248], 2.0, -v[7:8]
	ds_write_b128 v73, v[223:226] offset:640
	ds_write_b128 v73, v[205:208] offset:1280
	;; [unrolled: 1-line block ×3, first 2 shown]
	v_add_f64 v[201:202], v[9:10], -v[19:20]
	v_add_f64 v[203:204], v[11:12], -v[21:22]
	v_fma_f64 v[205:206], v[9:10], 2.0, -v[201:202]
	v_fma_f64 v[207:208], v[11:12], 2.0, -v[203:204]
	v_add_f64 v[9:10], v[35:36], -v[43:44]
	ds_write_b128 v254, v[205:208] offset:2688
	v_add_f64 v[205:206], v[2:3], -v[17:18]
	v_add_f64 v[207:208], v[7:8], v[15:16]
	v_fma_f64 v[17:18], v[33:34], 2.0, -v[4:5]
	v_fma_f64 v[19:20], v[35:36], 2.0, -v[9:10]
	v_fma_f64 v[209:210], v[2:3], 2.0, -v[205:206]
	v_fma_f64 v[211:212], v[7:8], 2.0, -v[207:208]
	v_add_f64 v[2:3], v[249:250], -v[39:40]
	v_add_f64 v[7:8], v[251:252], -v[41:42]
	ds_write_b128 v254, v[209:212] offset:3328
	ds_write_b128 v254, v[201:204] offset:3968
	v_fma_f64 v[11:12], v[249:250], 2.0, -v[2:3]
	v_fma_f64 v[15:16], v[251:252], 2.0, -v[7:8]
	v_add_f64 v[209:210], v[2:3], -v[9:10]
	v_add_f64 v[211:212], v[7:8], v[4:5]
	v_add_f64 v[201:202], v[11:12], -v[17:18]
	v_add_f64 v[203:204], v[15:16], -v[19:20]
	v_fma_f64 v[217:218], v[2:3], 2.0, -v[209:210]
	v_fma_f64 v[219:220], v[7:8], 2.0, -v[211:212]
	;; [unrolled: 1-line block ×4, first 2 shown]
	ds_write_b128 v254, v[205:208] offset:4608
	ds_write_b128 v254, v[213:216] offset:2944
	;; [unrolled: 1-line block ×5, first 2 shown]
	s_waitcnt lgkmcnt(0)
	; wave barrier
	s_waitcnt lgkmcnt(0)
	global_load_dwordx4 v[201:204], v13, s[10:11] offset:2400
	global_load_dwordx4 v[205:208], v13, s[10:11] offset:2656
	ds_read_b128 v[209:212], v254 offset:2560
	ds_read_b128 v[213:216], v254 offset:2816
	;; [unrolled: 1-line block ×6, first 2 shown]
	global_load_dwordx4 v[233:236], v[25:26], off offset:96
	global_load_dwordx4 v[237:240], v[25:26], off offset:608
	ds_read_b128 v[55:58], v254 offset:2048
	ds_read_b128 v[63:66], v254 offset:2304
	;; [unrolled: 1-line block ×5, first 2 shown]
	s_waitcnt vmcnt(3) lgkmcnt(10)
	v_mul_f64 v[2:3], v[211:212], v[203:204]
	v_mul_f64 v[4:5], v[209:210], v[203:204]
	v_fma_f64 v[6:7], v[209:210], v[201:202], -v[2:3]
	v_fma_f64 v[8:9], v[211:212], v[201:202], v[4:5]
	global_load_dwordx4 v[209:212], v13, s[10:11] offset:2912
	s_waitcnt vmcnt(3) lgkmcnt(9)
	v_mul_f64 v[2:3], v[215:216], v[207:208]
	v_mul_f64 v[4:5], v[213:214], v[207:208]
	v_fma_f64 v[10:11], v[213:214], v[205:206], -v[2:3]
	v_fma_f64 v[15:16], v[215:216], v[205:206], v[4:5]
	ds_read_b128 v[213:216], v254 offset:3072
	s_waitcnt lgkmcnt(3)
	v_add_f64 v[249:250], v[245:246], -v[10:11]
	v_add_f64 v[251:252], v[247:248], -v[15:16]
	v_fma_f64 v[245:246], v[245:246], 2.0, -v[249:250]
	v_fma_f64 v[247:248], v[247:248], 2.0, -v[251:252]
	s_waitcnt vmcnt(0) lgkmcnt(0)
	v_mul_f64 v[2:3], v[215:216], v[211:212]
	v_fma_f64 v[17:18], v[213:214], v[209:210], -v[2:3]
	v_mul_f64 v[2:3], v[213:214], v[211:212]
	v_fma_f64 v[19:20], v[215:216], v[209:210], v[2:3]
	global_load_dwordx4 v[213:216], v13, s[10:11] offset:3168
	s_waitcnt vmcnt(0)
	v_mul_f64 v[2:3], v[219:220], v[215:216]
	v_fma_f64 v[21:22], v[217:218], v[213:214], -v[2:3]
	v_mul_f64 v[2:3], v[217:218], v[215:216]
	v_fma_f64 v[23:24], v[219:220], v[213:214], v[2:3]
	global_load_dwordx4 v[217:220], v13, s[10:11] offset:3424
	s_waitcnt vmcnt(0)
	;; [unrolled: 6-line block ×4, first 2 shown]
	v_mul_f64 v[2:3], v[231:232], v[227:228]
	v_fma_f64 v[43:44], v[229:230], v[225:226], -v[2:3]
	v_mul_f64 v[2:3], v[229:230], v[227:228]
	v_add_f64 v[43:44], v[39:40], -v[43:44]
	v_fma_f64 v[45:46], v[231:232], v[225:226], v[2:3]
	global_load_dwordx4 v[229:232], v[25:26], off offset:352
	ds_read_b128 v[1:4], v254 offset:4352
	s_waitcnt lgkmcnt(0)
	v_mul_f64 v[31:32], v[3:4], v[235:236]
	v_add_f64 v[45:46], v[41:42], -v[45:46]
	v_fma_f64 v[39:40], v[39:40], 2.0, -v[43:44]
	v_fma_f64 v[51:52], v[1:2], v[233:234], -v[31:32]
	v_mul_f64 v[0:1], v[1:2], v[235:236]
	v_fma_f64 v[41:42], v[41:42], 2.0, -v[45:46]
	v_add_f64 v[51:52], v[47:48], -v[51:52]
	v_fma_f64 v[53:54], v[3:4], v[233:234], v[0:1]
	ds_read_b128 v[1:4], v254 offset:4608
	v_fma_f64 v[47:48], v[47:48], 2.0, -v[51:52]
	v_add_f64 v[53:54], v[49:50], -v[53:54]
	v_fma_f64 v[49:50], v[49:50], 2.0, -v[53:54]
	s_waitcnt vmcnt(0) lgkmcnt(0)
	v_mul_f64 v[31:32], v[3:4], v[231:232]
	v_fma_f64 v[59:60], v[1:2], v[229:230], -v[31:32]
	v_mul_f64 v[0:1], v[1:2], v[231:232]
	ds_read_b128 v[31:34], v254 offset:1280
	s_waitcnt lgkmcnt(0)
	v_add_f64 v[35:36], v[31:32], -v[35:36]
	v_add_f64 v[37:38], v[33:34], -v[37:38]
	v_fma_f64 v[61:62], v[3:4], v[229:230], v[0:1]
	ds_read_b128 v[1:4], v254 offset:4864
	v_add_f64 v[59:60], v[55:56], -v[59:60]
	s_waitcnt lgkmcnt(0)
	v_mul_f64 v[25:26], v[3:4], v[239:240]
	v_fma_f64 v[31:32], v[31:32], 2.0, -v[35:36]
	v_add_f64 v[61:62], v[57:58], -v[61:62]
	v_fma_f64 v[33:34], v[33:34], 2.0, -v[37:38]
	v_fma_f64 v[55:56], v[55:56], 2.0, -v[59:60]
	v_fma_f64 v[67:68], v[1:2], v[237:238], -v[25:26]
	v_mul_f64 v[0:1], v[1:2], v[239:240]
	v_fma_f64 v[57:58], v[57:58], 2.0, -v[61:62]
	v_add_f64 v[67:68], v[63:64], -v[67:68]
	v_fma_f64 v[69:70], v[3:4], v[237:238], v[0:1]
	ds_read_b128 v[1:4], v254
	s_waitcnt lgkmcnt(0)
	v_add_f64 v[241:242], v[1:2], -v[6:7]
	v_add_f64 v[243:244], v[3:4], -v[8:9]
	;; [unrolled: 1-line block ×3, first 2 shown]
	v_fma_f64 v[63:64], v[63:64], 2.0, -v[67:68]
	v_fma_f64 v[5:6], v[1:2], 2.0, -v[241:242]
	;; [unrolled: 1-line block ×3, first 2 shown]
	ds_read_b128 v[0:3], v254 offset:512
	v_fma_f64 v[65:66], v[65:66], 2.0, -v[69:70]
	s_waitcnt lgkmcnt(0)
	v_add_f64 v[9:10], v[0:1], -v[17:18]
	ds_read_b128 v[15:18], v254 offset:768
	v_add_f64 v[11:12], v[2:3], -v[19:20]
	s_waitcnt lgkmcnt(0)
	v_add_f64 v[19:20], v[15:16], -v[21:22]
	v_add_f64 v[21:22], v[17:18], -v[23:24]
	ds_read_b128 v[23:26], v254 offset:1024
	v_fma_f64 v[0:1], v[0:1], 2.0, -v[9:10]
	v_fma_f64 v[2:3], v[2:3], 2.0, -v[11:12]
	s_waitcnt lgkmcnt(0)
	v_add_f64 v[27:28], v[23:24], -v[27:28]
	v_add_f64 v[29:30], v[25:26], -v[29:30]
	v_fma_f64 v[15:16], v[15:16], 2.0, -v[19:20]
	v_fma_f64 v[17:18], v[17:18], 2.0, -v[21:22]
	;; [unrolled: 1-line block ×4, first 2 shown]
	ds_write_b128 v254, v[5:8]
	ds_write_b128 v253, v[241:244] offset:2560
	ds_write_b128 v254, v[245:248] offset:256
	;; [unrolled: 1-line block ×19, first 2 shown]
	s_waitcnt lgkmcnt(0)
	; wave barrier
	s_waitcnt lgkmcnt(0)
	global_load_dwordx4 v[0:3], v13, s[16:17]
	ds_read_b128 v[4:7], v254
	ds_read_b128 v[15:18], v254 offset:512
	ds_read_b128 v[19:22], v254 offset:1024
	;; [unrolled: 1-line block ×5, first 2 shown]
	s_waitcnt vmcnt(0) lgkmcnt(5)
	v_mul_f64 v[8:9], v[6:7], v[2:3]
	v_mul_f64 v[10:11], v[4:5], v[2:3]
	v_fma_f64 v[2:3], v[4:5], v[0:1], -v[8:9]
	v_fma_f64 v[4:5], v[6:7], v[0:1], v[10:11]
	global_load_dwordx4 v[6:9], v13, s[16:17] offset:512
	s_waitcnt vmcnt(0) lgkmcnt(4)
	v_mul_f64 v[0:1], v[17:18], v[8:9]
	v_mul_f64 v[10:11], v[15:16], v[8:9]
	v_fma_f64 v[8:9], v[15:16], v[6:7], -v[0:1]
	v_fma_f64 v[10:11], v[17:18], v[6:7], v[10:11]
	global_load_dwordx4 v[15:18], v13, s[16:17] offset:1024
	;; [unrolled: 6-line block ×5, first 2 shown]
	s_waitcnt vmcnt(0) lgkmcnt(0)
	v_mul_f64 v[0:1], v[39:40], v[35:36]
	v_mul_f64 v[6:7], v[37:38], v[35:36]
	v_fma_f64 v[35:36], v[37:38], v[33:34], -v[0:1]
	v_fma_f64 v[37:38], v[39:40], v[33:34], v[6:7]
	ds_write_b128 v254, v[2:5]
	ds_write_b128 v254, v[8:11] offset:512
	ds_write_b128 v254, v[17:20] offset:1024
	;; [unrolled: 1-line block ×5, first 2 shown]
	global_load_dwordx4 v[0:3], v13, s[16:17] offset:3072
	ds_read_b128 v[4:7], v253 offset:3072
	ds_read_b128 v[15:18], v253 offset:3584
	;; [unrolled: 1-line block ×4, first 2 shown]
	s_waitcnt vmcnt(0) lgkmcnt(3)
	v_mul_f64 v[8:9], v[6:7], v[2:3]
	v_mul_f64 v[10:11], v[4:5], v[2:3]
	v_fma_f64 v[2:3], v[4:5], v[0:1], -v[8:9]
	v_fma_f64 v[4:5], v[6:7], v[0:1], v[10:11]
	global_load_dwordx4 v[6:9], v13, s[16:17] offset:3584
	s_waitcnt vmcnt(0) lgkmcnt(2)
	v_mul_f64 v[0:1], v[17:18], v[8:9]
	v_mul_f64 v[10:11], v[15:16], v[8:9]
	v_fma_f64 v[8:9], v[15:16], v[6:7], -v[0:1]
	v_or_b32_e32 v0, 0x1000, v13
	v_fma_f64 v[10:11], v[17:18], v[6:7], v[10:11]
	global_load_dwordx4 v[15:18], v0, s[16:17]
	s_waitcnt vmcnt(0) lgkmcnt(1)
	v_mul_f64 v[0:1], v[21:22], v[17:18]
	v_mul_f64 v[6:7], v[19:20], v[17:18]
	v_fma_f64 v[17:18], v[19:20], v[15:16], -v[0:1]
	v_or_b32_e32 v0, 0x1200, v13
	v_fma_f64 v[19:20], v[21:22], v[15:16], v[6:7]
	global_load_dwordx4 v[21:24], v0, s[16:17]
	s_waitcnt vmcnt(0) lgkmcnt(0)
	v_mul_f64 v[0:1], v[27:28], v[23:24]
	v_mul_f64 v[6:7], v[25:26], v[23:24]
	v_fma_f64 v[23:24], v[25:26], v[21:22], -v[0:1]
	v_fma_f64 v[25:26], v[27:28], v[21:22], v[6:7]
	ds_write_b128 v253, v[2:5] offset:3072
	ds_write_b128 v253, v[8:11] offset:3584
	;; [unrolled: 1-line block ×4, first 2 shown]
	global_load_dwordx4 v[0:3], v13, s[16:17] offset:256
	ds_read_b128 v[4:7], v254 offset:256
	ds_read_b128 v[15:18], v254 offset:768
	s_waitcnt vmcnt(0) lgkmcnt(1)
	v_mul_f64 v[8:9], v[6:7], v[2:3]
	v_mul_f64 v[10:11], v[4:5], v[2:3]
	v_fma_f64 v[2:3], v[4:5], v[0:1], -v[8:9]
	v_fma_f64 v[4:5], v[6:7], v[0:1], v[10:11]
	global_load_dwordx4 v[6:9], v13, s[16:17] offset:768
	s_waitcnt vmcnt(0) lgkmcnt(0)
	v_mul_f64 v[0:1], v[17:18], v[8:9]
	v_mul_f64 v[10:11], v[15:16], v[8:9]
	v_fma_f64 v[8:9], v[15:16], v[6:7], -v[0:1]
	v_fma_f64 v[10:11], v[17:18], v[6:7], v[10:11]
	ds_write_b128 v254, v[2:5] offset:256
	ds_write_b128 v254, v[8:11] offset:768
	global_load_dwordx4 v[0:3], v13, s[16:17] offset:1280
	ds_read_b128 v[4:7], v253 offset:1280
	ds_read_b128 v[15:18], v253 offset:1792
	;; [unrolled: 1-line block ×3, first 2 shown]
	s_waitcnt vmcnt(0) lgkmcnt(2)
	v_mul_f64 v[8:9], v[6:7], v[2:3]
	v_mul_f64 v[10:11], v[4:5], v[2:3]
	v_fma_f64 v[2:3], v[4:5], v[0:1], -v[8:9]
	v_fma_f64 v[4:5], v[6:7], v[0:1], v[10:11]
	global_load_dwordx4 v[6:9], v13, s[16:17] offset:1792
	s_waitcnt vmcnt(0) lgkmcnt(1)
	v_mul_f64 v[0:1], v[17:18], v[8:9]
	v_mul_f64 v[10:11], v[15:16], v[8:9]
	v_fma_f64 v[8:9], v[15:16], v[6:7], -v[0:1]
	v_fma_f64 v[10:11], v[17:18], v[6:7], v[10:11]
	global_load_dwordx4 v[15:18], v13, s[16:17] offset:2304
	s_waitcnt vmcnt(0) lgkmcnt(0)
	v_mul_f64 v[0:1], v[21:22], v[17:18]
	v_mul_f64 v[6:7], v[19:20], v[17:18]
	v_fma_f64 v[17:18], v[19:20], v[15:16], -v[0:1]
	v_fma_f64 v[19:20], v[21:22], v[15:16], v[6:7]
	ds_write_b128 v253, v[2:5] offset:1280
	ds_write_b128 v253, v[8:11] offset:1792
	;; [unrolled: 1-line block ×3, first 2 shown]
	global_load_dwordx4 v[0:3], v13, s[16:17] offset:2816
	ds_read_b128 v[4:7], v254 offset:2816
	s_waitcnt vmcnt(0) lgkmcnt(0)
	v_mul_f64 v[8:9], v[6:7], v[2:3]
	v_mul_f64 v[10:11], v[4:5], v[2:3]
	v_fma_f64 v[2:3], v[4:5], v[0:1], -v[8:9]
	v_fma_f64 v[4:5], v[6:7], v[0:1], v[10:11]
	ds_write_b128 v254, v[2:5] offset:2816
	global_load_dwordx4 v[0:3], v13, s[16:17] offset:3328
	ds_read_b128 v[4:7], v253 offset:3328
	ds_read_b128 v[19:22], v253 offset:4352
	;; [unrolled: 1-line block ×3, first 2 shown]
	s_waitcnt vmcnt(0) lgkmcnt(2)
	v_mul_f64 v[8:9], v[6:7], v[2:3]
	v_mul_f64 v[10:11], v[4:5], v[2:3]
	v_fma_f64 v[2:3], v[4:5], v[0:1], -v[8:9]
	v_fma_f64 v[4:5], v[6:7], v[0:1], v[10:11]
	global_load_dwordx4 v[6:9], v13, s[16:17] offset:3840
	ds_read_b128 v[10:13], v253 offset:3840
	s_waitcnt vmcnt(0) lgkmcnt(0)
	v_mul_f64 v[0:1], v[12:13], v[8:9]
	v_mul_f64 v[15:16], v[10:11], v[8:9]
	v_fma_f64 v[8:9], v[10:11], v[6:7], -v[0:1]
	v_fma_f64 v[10:11], v[12:13], v[6:7], v[15:16]
	global_load_dwordx4 v[15:18], v80, s[16:17]
	s_waitcnt vmcnt(0)
	v_mul_f64 v[0:1], v[21:22], v[17:18]
	v_mul_f64 v[6:7], v[19:20], v[17:18]
	v_fma_f64 v[17:18], v[19:20], v[15:16], -v[0:1]
	v_fma_f64 v[19:20], v[21:22], v[15:16], v[6:7]
	global_load_dwordx4 v[21:24], v79, s[16:17]
	s_waitcnt vmcnt(0)
	v_mul_f64 v[0:1], v[27:28], v[23:24]
	v_mul_f64 v[6:7], v[25:26], v[23:24]
	v_fma_f64 v[23:24], v[25:26], v[21:22], -v[0:1]
	v_fma_f64 v[25:26], v[27:28], v[21:22], v[6:7]
	ds_write_b128 v253, v[2:5] offset:3328
	ds_write_b128 v253, v[8:11] offset:3840
	;; [unrolled: 1-line block ×4, first 2 shown]
	s_waitcnt lgkmcnt(0)
	; wave barrier
	s_waitcnt lgkmcnt(0)
	ds_read_b128 v[0:3], v254
	ds_read_b128 v[4:7], v254 offset:1024
	ds_read_b128 v[8:11], v254 offset:2048
	s_waitcnt lgkmcnt(1)
	v_add_f64 v[15:16], v[2:3], v[6:7]
	v_add_f64 v[12:13], v[0:1], v[4:5]
	s_waitcnt lgkmcnt(0)
	v_add_f64 v[251:252], v[4:5], -v[8:9]
	v_add_f64 v[76:77], v[8:9], -v[4:5]
	;; [unrolled: 1-line block ×4, first 2 shown]
	v_add_f64 v[19:20], v[15:16], v[10:11]
	ds_read_b128 v[15:18], v253 offset:3072
	v_add_f64 v[12:13], v[12:13], v[8:9]
	s_waitcnt lgkmcnt(0)
	v_add_f64 v[23:24], v[8:9], v[15:16]
	v_add_f64 v[25:26], v[10:11], -v[17:18]
	v_add_f64 v[31:32], v[10:11], v[17:18]
	v_add_f64 v[33:34], v[8:9], -v[15:16]
	ds_read_b128 v[8:11], v253 offset:4096
	v_fma_f64 v[23:24], v[23:24], -0.5, v[0:1]
	s_waitcnt lgkmcnt(0)
	v_add_f64 v[39:40], v[6:7], -v[10:11]
	v_add_f64 v[41:42], v[4:5], v[8:9]
	v_add_f64 v[43:44], v[4:5], -v[8:9]
	v_add_f64 v[45:46], v[6:7], v[10:11]
	v_add_f64 v[4:5], v[12:13], v[15:16]
	v_add_f64 v[6:7], v[19:20], v[17:18]
	v_add_f64 v[29:30], v[8:9], -v[15:16]
	v_add_f64 v[47:48], v[15:16], -v[8:9]
	;; [unrolled: 1-line block ×4, first 2 shown]
	v_fma_f64 v[41:42], v[41:42], -0.5, v[0:1]
	v_fma_f64 v[31:32], v[31:32], -0.5, v[2:3]
	v_add_f64 v[53:54], v[4:5], v[8:9]
	v_add_f64 v[55:56], v[6:7], v[10:11]
	ds_read_b128 v[4:7], v254 offset:512
	ds_read_b128 v[8:11], v254 offset:1536
	;; [unrolled: 1-line block ×3, first 2 shown]
	v_fma_f64 v[45:46], v[45:46], -0.5, v[2:3]
	v_add_f64 v[35:36], v[35:36], v[49:50]
	v_add_f64 v[29:30], v[251:252], v[29:30]
	s_waitcnt lgkmcnt(1)
	v_add_f64 v[19:20], v[4:5], v[8:9]
	s_waitcnt lgkmcnt(0)
	v_add_f64 v[65:66], v[8:9], -v[15:16]
	v_add_f64 v[67:68], v[15:16], -v[8:9]
	;; [unrolled: 1-line block ×4, first 2 shown]
	v_add_f64 v[57:58], v[19:20], v[15:16]
	v_add_f64 v[19:20], v[6:7], v[10:11]
	;; [unrolled: 1-line block ×3, first 2 shown]
	ds_read_b128 v[19:22], v253 offset:3584
	s_waitcnt lgkmcnt(0)
	v_add_f64 v[61:62], v[15:16], v[19:20]
	v_add_f64 v[69:70], v[17:18], v[21:22]
	;; [unrolled: 1-line block ×3, first 2 shown]
	v_add_f64 v[63:64], v[17:18], -v[21:22]
	v_add_f64 v[74:75], v[15:16], -v[19:20]
	ds_read_b128 v[15:18], v253 offset:4608
	v_add_f64 v[59:60], v[59:60], v[21:22]
	s_waitcnt lgkmcnt(0)
	v_add_f64 v[241:242], v[8:9], v[15:16]
	v_add_f64 v[8:9], v[8:9], -v[15:16]
	v_add_f64 v[12:13], v[15:16], -v[19:20]
	;; [unrolled: 1-line block ×3, first 2 shown]
	v_add_f64 v[15:16], v[57:58], v[15:16]
	v_fma_f64 v[57:58], v[61:62], -0.5, v[4:5]
	v_fma_f64 v[61:62], v[69:70], -0.5, v[6:7]
	v_add_f64 v[27:28], v[10:11], -v[17:18]
	v_add_f64 v[79:80], v[17:18], -v[21:22]
	v_add_f64 v[10:11], v[10:11], v[17:18]
	v_add_f64 v[21:22], v[21:22], -v[17:18]
	v_add_f64 v[17:18], v[59:60], v[17:18]
	v_fma_f64 v[59:60], v[241:242], -0.5, v[4:5]
	v_add_f64 v[241:242], v[53:54], v[15:16]
	v_fma_f64 v[0:1], v[8:9], s[6:7], v[61:62]
	v_add_f64 v[245:246], v[53:54], -v[15:16]
	v_add_f64 v[53:54], v[249:250], v[79:80]
	v_fma_f64 v[2:3], v[27:28], s[14:15], v[57:58]
	v_add_f64 v[49:50], v[65:66], v[12:13]
	v_fma_f64 v[69:70], v[10:11], -0.5, v[6:7]
	v_add_f64 v[21:22], v[71:72], v[21:22]
	v_add_f64 v[19:20], v[67:68], v[19:20]
	v_fma_f64 v[0:1], v[74:75], s[8:9], v[0:1]
	v_add_f64 v[243:244], v[55:56], v[17:18]
	v_add_f64 v[247:248], v[55:56], -v[17:18]
	v_fma_f64 v[2:3], v[63:64], s[18:19], v[2:3]
	v_add_f64 v[17:18], v[37:38], v[51:52]
	v_add_f64 v[15:16], v[76:77], v[47:48]
	v_fma_f64 v[0:1], v[53:54], s[12:13], v[0:1]
	v_fma_f64 v[2:3], v[49:50], s[12:13], v[2:3]
	v_mul_f64 v[4:5], v[0:1], s[18:19]
	v_fma_f64 v[10:11], v[2:3], s[24:25], v[4:5]
	v_mul_f64 v[2:3], v[2:3], s[8:9]
	v_fma_f64 v[4:5], v[43:44], s[6:7], v[31:32]
	v_fma_f64 v[31:32], v[43:44], s[14:15], v[31:32]
	;; [unrolled: 1-line block ×10, first 2 shown]
	v_add_f64 v[6:7], v[12:13], v[0:1]
	v_add_f64 v[251:252], v[12:13], -v[0:1]
	v_fma_f64 v[0:1], v[74:75], s[14:15], v[69:70]
	v_fma_f64 v[29:30], v[29:30], s[12:13], v[23:24]
	v_add_f64 v[4:5], v[2:3], v[10:11]
	v_add_f64 v[249:250], v[2:3], -v[10:11]
	v_fma_f64 v[2:3], v[63:64], s[6:7], v[59:60]
	v_fma_f64 v[0:1], v[8:9], s[8:9], v[0:1]
	;; [unrolled: 1-line block ×5, first 2 shown]
	v_mul_f64 v[10:11], v[0:1], s[14:15]
	v_mul_f64 v[0:1], v[0:1], s[12:13]
	v_fma_f64 v[37:38], v[2:3], s[12:13], v[10:11]
	v_fma_f64 v[2:3], v[2:3], s[6:7], v[0:1]
	;; [unrolled: 1-line block ×8, first 2 shown]
	v_add_f64 v[10:11], v[0:1], v[37:38]
	v_add_f64 v[0:1], v[0:1], -v[37:38]
	v_fma_f64 v[37:38], v[25:26], s[14:15], v[41:42]
	v_fma_f64 v[25:26], v[33:34], s[18:19], v[31:32]
	v_add_f64 v[12:13], v[47:48], v[2:3]
	v_add_f64 v[2:3], v[47:48], -v[2:3]
	v_fma_f64 v[37:38], v[39:40], s[8:9], v[37:38]
	v_fma_f64 v[31:32], v[35:36], s[12:13], v[25:26]
	v_fma_f64 v[37:38], v[15:16], s[12:13], v[37:38]
	v_fma_f64 v[15:16], v[33:34], s[6:7], v[45:46]
	v_fma_f64 v[15:16], v[43:44], s[18:19], v[15:16]
	v_fma_f64 v[41:42], v[17:18], s[12:13], v[15:16]
	v_fma_f64 v[15:16], v[74:75], s[6:7], v[69:70]
	v_fma_f64 v[17:18], v[63:64], s[14:15], v[59:60]
	v_fma_f64 v[15:16], v[8:9], s[18:19], v[15:16]
	v_fma_f64 v[8:9], v[8:9], s[14:15], v[61:62]
	v_fma_f64 v[17:18], v[27:28], s[8:9], v[17:18]
	v_fma_f64 v[27:28], v[27:28], s[6:7], v[57:58]
	v_fma_f64 v[15:16], v[21:22], s[12:13], v[15:16]
	v_fma_f64 v[8:9], v[74:75], s[18:19], v[8:9]
	v_fma_f64 v[17:18], v[19:20], s[12:13], v[17:18]
	v_fma_f64 v[27:28], v[63:64], s[8:9], v[27:28]
	v_mul_f64 v[19:20], v[15:16], s[14:15]
	v_fma_f64 v[8:9], v[53:54], s[12:13], v[8:9]
	v_mul_f64 v[15:16], v[15:16], s[22:23]
	v_fma_f64 v[23:24], v[49:50], s[12:13], v[27:28]
	v_fma_f64 v[19:20], v[17:18], s[22:23], v[19:20]
	v_mul_f64 v[25:26], v[8:9], s[18:19]
	v_mul_f64 v[8:9], v[8:9], s[20:21]
	v_fma_f64 v[21:22], v[17:18], s[6:7], v[15:16]
	v_add_f64 v[15:16], v[37:38], v[19:20]
	v_fma_f64 v[27:28], v[23:24], s[20:21], v[25:26]
	v_fma_f64 v[8:9], v[23:24], s[8:9], v[8:9]
	v_add_f64 v[17:18], v[41:42], v[21:22]
	v_add_f64 v[19:20], v[37:38], -v[19:20]
	v_add_f64 v[21:22], v[41:42], -v[21:22]
	v_add_f64 v[23:24], v[29:30], v[27:28]
	v_add_f64 v[25:26], v[31:32], v[8:9]
	v_add_f64 v[27:28], v[29:30], -v[27:28]
	v_add_f64 v[29:30], v[31:32], -v[8:9]
	ds_read_b128 v[31:34], v254 offset:256
	ds_read_b128 v[35:38], v254 offset:768
	;; [unrolled: 1-line block ×10, first 2 shown]
	s_waitcnt lgkmcnt(0)
	; wave barrier
	s_waitcnt lgkmcnt(0)
	ds_write_b128 v255, v[241:244]
	ds_write_b128 v255, v[4:7] offset:16
	ds_write_b128 v255, v[10:13] offset:32
	;; [unrolled: 1-line block ×9, first 2 shown]
	v_add_f64 v[0:1], v[31:32], v[39:40]
	v_add_f64 v[2:3], v[33:34], v[41:42]
	v_add_f64 v[12:13], v[49:50], -v[57:58]
	v_add_f64 v[6:7], v[49:50], v[57:58]
	v_add_f64 v[10:11], v[41:42], -v[49:50]
	v_add_f64 v[21:22], v[49:50], -v[41:42]
	v_add_f64 v[17:18], v[41:42], v[65:66]
	v_add_f64 v[4:5], v[47:48], v[55:56]
	;; [unrolled: 1-line block ×4, first 2 shown]
	v_add_f64 v[49:50], v[41:42], -v[65:66]
	v_add_f64 v[8:9], v[39:40], -v[47:48]
	;; [unrolled: 1-line block ×6, first 2 shown]
	v_add_f64 v[0:1], v[0:1], v[55:56]
	v_add_f64 v[2:3], v[2:3], v[57:58]
	;; [unrolled: 1-line block ×3, first 2 shown]
	v_add_f64 v[27:28], v[65:66], -v[57:58]
	v_add_f64 v[29:30], v[57:58], -v[65:66]
	v_add_f64 v[57:58], v[51:52], v[59:60]
	v_add_f64 v[71:72], v[51:52], -v[43:44]
	v_add_f64 v[241:242], v[43:44], v[67:68]
	v_add_f64 v[41:42], v[0:1], v[63:64]
	;; [unrolled: 1-line block ×5, first 2 shown]
	v_add_f64 v[65:66], v[43:44], -v[51:52]
	v_add_f64 v[43:44], v[43:44], -v[67:68]
	v_add_f64 v[243:244], v[67:68], -v[59:60]
	v_fma_f64 v[74:75], v[74:75], -0.5, v[37:38]
	v_add_f64 v[15:16], v[39:40], v[63:64]
	v_add_f64 v[0:1], v[0:1], v[51:52]
	v_add_f64 v[51:52], v[51:52], -v[59:60]
	v_add_f64 v[2:3], v[2:3], v[53:54]
	v_add_f64 v[39:40], v[39:40], -v[63:64]
	v_add_f64 v[63:64], v[53:54], -v[61:62]
	;; [unrolled: 1-line block ×5, first 2 shown]
	v_add_f64 v[0:1], v[0:1], v[59:60]
	v_add_f64 v[59:60], v[59:60], -v[67:68]
	v_add_f64 v[2:3], v[2:3], v[61:62]
	v_add_f64 v[45:46], v[45:46], v[69:70]
	v_add_f64 v[245:246], v[69:70], -v[61:62]
	v_add_f64 v[61:62], v[61:62], -v[69:70]
	v_fma_f64 v[247:248], v[4:5], -0.5, v[31:32]
	v_fma_f64 v[57:58], v[57:58], -0.5, v[35:36]
	v_add_f64 v[67:68], v[0:1], v[67:68]
	v_fma_f64 v[249:250], v[6:7], -0.5, v[33:34]
	v_add_f64 v[69:70], v[2:3], v[69:70]
	;; [unrolled: 2-line block ×3, first 2 shown]
	v_fma_f64 v[31:32], v[15:16], -0.5, v[31:32]
	v_fma_f64 v[33:34], v[17:18], -0.5, v[33:34]
	v_fma_f64 v[10:11], v[79:80], s[14:15], v[57:58]
	v_add_f64 v[0:1], v[41:42], v[67:68]
	v_add_f64 v[4:5], v[41:42], -v[67:68]
	v_add_f64 v[41:42], v[8:9], v[23:24]
	v_fma_f64 v[8:9], v[43:44], s[6:7], v[74:75]
	v_add_f64 v[2:3], v[55:56], v[69:70]
	v_add_f64 v[6:7], v[55:56], -v[69:70]
	v_add_f64 v[55:56], v[65:66], v[243:244]
	v_add_f64 v[65:66], v[76:77], v[245:246]
	v_fma_f64 v[10:11], v[63:64], s[18:19], v[10:11]
	v_fma_f64 v[35:36], v[241:242], -0.5, v[35:36]
	v_add_f64 v[29:30], v[21:22], v[29:30]
	v_fma_f64 v[8:9], v[51:52], s[8:9], v[8:9]
	v_add_f64 v[53:54], v[53:54], v[61:62]
	v_add_f64 v[59:60], v[71:72], v[59:60]
	v_fma_f64 v[10:11], v[55:56], s[12:13], v[10:11]
	v_fma_f64 v[21:22], v[63:64], s[6:7], v[35:36]
	;; [unrolled: 1-line block ×4, first 2 shown]
	v_mul_f64 v[15:16], v[8:9], s[18:19]
	v_fma_f64 v[21:22], v[59:60], s[12:13], v[21:22]
	v_fma_f64 v[15:16], v[10:11], s[24:25], v[15:16]
	v_mul_f64 v[10:11], v[10:11], s[8:9]
	v_fma_f64 v[17:18], v[8:9], s[24:25], v[10:11]
	v_fma_f64 v[10:11], v[39:40], s[6:7], v[249:250]
	;; [unrolled: 1-line block ×7, first 2 shown]
	v_add_f64 v[10:11], v[27:28], v[17:18]
	v_add_f64 v[17:18], v[27:28], -v[17:18]
	v_add_f64 v[27:28], v[19:20], v[25:26]
	v_fma_f64 v[19:20], v[51:52], s[14:15], v[37:38]
	v_add_f64 v[8:9], v[23:24], v[15:16]
	v_add_f64 v[15:16], v[23:24], -v[15:16]
	v_fma_f64 v[19:20], v[43:44], s[8:9], v[19:20]
	v_fma_f64 v[19:20], v[53:54], s[12:13], v[19:20]
	v_mul_f64 v[23:24], v[19:20], s[14:15]
	v_mul_f64 v[19:20], v[19:20], s[12:13]
	v_fma_f64 v[23:24], v[21:22], s[12:13], v[23:24]
	v_fma_f64 v[25:26], v[21:22], s[6:7], v[19:20]
	;; [unrolled: 1-line block ×12, first 2 shown]
	v_add_f64 v[19:20], v[61:62], v[23:24]
	v_add_f64 v[23:24], v[61:62], -v[23:24]
	v_fma_f64 v[27:28], v[39:40], s[18:19], v[27:28]
	v_fma_f64 v[39:40], v[39:40], s[14:15], v[249:250]
	v_add_f64 v[21:22], v[67:68], v[25:26]
	v_add_f64 v[25:26], v[67:68], -v[25:26]
	v_fma_f64 v[33:34], v[29:30], s[12:13], v[27:28]
	v_fma_f64 v[27:28], v[51:52], s[6:7], v[37:38]
	;; [unrolled: 1-line block ×7, first 2 shown]
	v_mul_f64 v[35:36], v[27:28], s[14:15]
	v_mul_f64 v[27:28], v[27:28], s[22:23]
	v_fma_f64 v[35:36], v[29:30], s[22:23], v[35:36]
	v_fma_f64 v[37:38], v[29:30], s[6:7], v[27:28]
	v_add_f64 v[27:28], v[31:32], v[35:36]
	v_add_f64 v[31:32], v[31:32], -v[35:36]
	v_fma_f64 v[35:36], v[43:44], s[14:15], v[74:75]
	v_add_f64 v[29:30], v[33:34], v[37:38]
	v_add_f64 v[33:34], v[33:34], -v[37:38]
	v_fma_f64 v[37:38], v[49:50], s[6:7], v[247:248]
	v_fma_f64 v[43:44], v[79:80], s[6:7], v[57:58]
	;; [unrolled: 1-line block ×10, first 2 shown]
	v_mul_f64 v[39:40], v[35:36], s[18:19]
	v_mul_f64 v[35:36], v[35:36], s[20:21]
	v_fma_f64 v[39:40], v[37:38], s[20:21], v[39:40]
	v_fma_f64 v[43:44], v[37:38], s[8:9], v[35:36]
	v_add_f64 v[35:36], v[12:13], v[39:40]
	v_add_f64 v[37:38], v[41:42], v[43:44]
	v_add_f64 v[39:40], v[12:13], -v[39:40]
	v_add_f64 v[41:42], v[41:42], -v[43:44]
	ds_write_b128 v14, v[0:3]
	ds_write_b128 v14, v[8:11] offset:16
	ds_write_b128 v14, v[19:22] offset:32
	;; [unrolled: 1-line block ×9, first 2 shown]
	s_waitcnt lgkmcnt(0)
	; wave barrier
	s_waitcnt lgkmcnt(0)
	ds_read_b128 v[0:3], v254 offset:1280
	s_waitcnt lgkmcnt(0)
	v_mul_f64 v[4:5], v[87:88], v[2:3]
	v_fma_f64 v[4:5], v[85:86], v[0:1], v[4:5]
	v_mul_f64 v[0:1], v[87:88], v[0:1]
	v_fma_f64 v[6:7], v[85:86], v[2:3], -v[0:1]
	ds_read_b128 v[0:3], v254 offset:2560
	s_waitcnt lgkmcnt(0)
	v_mul_f64 v[8:9], v[83:84], v[2:3]
	v_fma_f64 v[8:9], v[81:82], v[0:1], v[8:9]
	v_mul_f64 v[0:1], v[83:84], v[0:1]
	v_fma_f64 v[10:11], v[81:82], v[2:3], -v[0:1]
	ds_read_b128 v[0:3], v254 offset:3840
	s_waitcnt lgkmcnt(0)
	v_mul_f64 v[12:13], v[91:92], v[2:3]
	v_fma_f64 v[12:13], v[89:90], v[0:1], v[12:13]
	v_mul_f64 v[0:1], v[91:92], v[0:1]
	v_add_f64 v[79:80], v[4:5], -v[12:13]
	v_fma_f64 v[14:15], v[89:90], v[2:3], -v[0:1]
	ds_read_b128 v[0:3], v254 offset:1536
	s_waitcnt lgkmcnt(0)
	v_mul_f64 v[16:17], v[99:100], v[2:3]
	v_add_f64 v[81:82], v[6:7], -v[14:15]
	v_fma_f64 v[28:29], v[97:98], v[0:1], v[16:17]
	v_mul_f64 v[0:1], v[99:100], v[0:1]
	v_fma_f64 v[30:31], v[97:98], v[2:3], -v[0:1]
	ds_read_b128 v[0:3], v254 offset:2816
	s_waitcnt lgkmcnt(0)
	v_mul_f64 v[16:17], v[95:96], v[2:3]
	v_fma_f64 v[32:33], v[93:94], v[0:1], v[16:17]
	v_mul_f64 v[0:1], v[95:96], v[0:1]
	v_fma_f64 v[34:35], v[93:94], v[2:3], -v[0:1]
	ds_read_b128 v[0:3], v254 offset:4096
	s_waitcnt lgkmcnt(0)
	v_mul_f64 v[16:17], v[103:104], v[2:3]
	;; [unrolled: 6-line block ×11, first 2 shown]
	v_fma_f64 v[74:75], v[129:130], v[0:1], v[16:17]
	v_mul_f64 v[0:1], v[131:132], v[0:1]
	v_fma_f64 v[76:77], v[129:130], v[2:3], -v[0:1]
	ds_read_b128 v[0:3], v254
	s_waitcnt lgkmcnt(0)
	v_add_f64 v[24:25], v[0:1], -v[8:9]
	v_add_f64 v[26:27], v[2:3], -v[10:11]
	v_fma_f64 v[8:9], v[0:1], 2.0, -v[24:25]
	v_fma_f64 v[10:11], v[2:3], 2.0, -v[26:27]
	v_fma_f64 v[0:1], v[4:5], 2.0, -v[79:80]
	v_fma_f64 v[2:3], v[6:7], 2.0, -v[81:82]
	v_add_f64 v[0:1], v[8:9], -v[0:1]
	v_add_f64 v[2:3], v[10:11], -v[2:3]
	v_fma_f64 v[4:5], v[8:9], 2.0, -v[0:1]
	v_fma_f64 v[6:7], v[10:11], 2.0, -v[2:3]
	ds_read_b128 v[8:11], v254 offset:256
	ds_read_b128 v[12:15], v254 offset:512
	;; [unrolled: 1-line block ×4, first 2 shown]
	s_waitcnt lgkmcnt(0)
	; wave barrier
	s_waitcnt lgkmcnt(0)
	buffer_load_dword v72, off, s[28:31], 0 offset:348 ; 4-byte Folded Reload
	s_waitcnt vmcnt(0)
	ds_write_b128 v72, v[4:7]
	v_add_f64 v[4:5], v[24:25], v[81:82]
	v_add_f64 v[6:7], v[26:27], -v[79:80]
	v_fma_f64 v[24:25], v[24:25], 2.0, -v[4:5]
	v_fma_f64 v[26:27], v[26:27], 2.0, -v[6:7]
	ds_write_b128 v72, v[24:27] offset:160
	ds_write_b128 v72, v[0:3] offset:320
	;; [unrolled: 1-line block ×3, first 2 shown]
	v_add_f64 v[24:25], v[8:9], -v[32:33]
	v_add_f64 v[26:27], v[10:11], -v[34:35]
	;; [unrolled: 1-line block ×4, first 2 shown]
	v_fma_f64 v[4:5], v[8:9], 2.0, -v[24:25]
	v_add_f64 v[8:9], v[28:29], -v[36:37]
	v_fma_f64 v[6:7], v[10:11], 2.0, -v[26:27]
	v_add_f64 v[10:11], v[30:31], -v[38:39]
	v_fma_f64 v[0:1], v[28:29], 2.0, -v[8:9]
	buffer_load_dword v28, off, s[28:31], 0 offset:344 ; 4-byte Folded Reload
	v_fma_f64 v[2:3], v[30:31], 2.0, -v[10:11]
	v_add_f64 v[30:31], v[52:53], -v[60:61]
	v_add_f64 v[0:1], v[4:5], -v[0:1]
	;; [unrolled: 1-line block ×3, first 2 shown]
	v_fma_f64 v[4:5], v[4:5], 2.0, -v[0:1]
	v_fma_f64 v[6:7], v[6:7], 2.0, -v[2:3]
	s_waitcnt vmcnt(0)
	ds_write_b128 v28, v[4:7]
	v_add_f64 v[4:5], v[24:25], v[10:11]
	v_add_f64 v[6:7], v[26:27], -v[8:9]
	v_mov_b32_e32 v72, v28
	ds_write_b128 v28, v[0:3] offset:320
	v_fma_f64 v[8:9], v[24:25], 2.0, -v[4:5]
	ds_write_b128 v72, v[4:7] offset:480
	buffer_load_dword v4, off, s[28:31], 0 offset:340 ; 4-byte Folded Reload
	v_fma_f64 v[10:11], v[26:27], 2.0, -v[6:7]
	v_add_f64 v[24:25], v[12:13], -v[44:45]
	v_add_f64 v[26:27], v[14:15], -v[46:47]
	ds_write_b128 v28, v[8:11] offset:160
	v_add_f64 v[10:11], v[40:41], -v[48:49]
	v_add_f64 v[8:9], v[42:43], -v[50:51]
	;; [unrolled: 1-line block ×3, first 2 shown]
	v_fma_f64 v[12:13], v[12:13], 2.0, -v[24:25]
	v_fma_f64 v[14:15], v[14:15], 2.0, -v[26:27]
	v_add_f64 v[48:49], v[20:21], -v[68:69]
	v_add_f64 v[50:51], v[22:23], -v[70:71]
	v_fma_f64 v[0:1], v[40:41], 2.0, -v[10:11]
	v_fma_f64 v[2:3], v[42:43], 2.0, -v[8:9]
	v_add_f64 v[40:41], v[16:17], -v[56:57]
	v_add_f64 v[42:43], v[18:19], -v[58:59]
	v_add_f64 v[8:9], v[24:25], v[8:9]
	v_add_f64 v[10:11], v[26:27], -v[10:11]
	v_fma_f64 v[44:45], v[20:21], 2.0, -v[48:49]
	v_fma_f64 v[46:47], v[22:23], 2.0, -v[50:51]
	v_add_f64 v[0:1], v[12:13], -v[0:1]
	v_add_f64 v[2:3], v[14:15], -v[2:3]
	v_fma_f64 v[36:37], v[16:17], 2.0, -v[40:41]
	v_fma_f64 v[38:39], v[18:19], 2.0, -v[42:43]
	;; [unrolled: 1-line block ×4, first 2 shown]
	v_add_f64 v[28:29], v[40:41], v[28:29]
	v_add_f64 v[30:31], v[42:43], -v[30:31]
	v_fma_f64 v[12:13], v[12:13], 2.0, -v[0:1]
	v_fma_f64 v[14:15], v[14:15], 2.0, -v[2:3]
	;; [unrolled: 1-line block ×4, first 2 shown]
	v_add_f64 v[16:17], v[36:37], -v[16:17]
	v_add_f64 v[18:19], v[38:39], -v[18:19]
	v_fma_f64 v[40:41], v[40:41], 2.0, -v[28:29]
	v_fma_f64 v[42:43], v[42:43], 2.0, -v[30:31]
	v_fma_f64 v[20:21], v[64:65], 2.0, -v[34:35]
	v_fma_f64 v[22:23], v[66:67], 2.0, -v[32:33]
	v_add_f64 v[32:33], v[48:49], v[32:33]
	v_add_f64 v[34:35], v[50:51], -v[34:35]
	v_fma_f64 v[36:37], v[36:37], 2.0, -v[16:17]
	v_fma_f64 v[38:39], v[38:39], 2.0, -v[18:19]
	s_waitcnt vmcnt(0)
	ds_write_b128 v4, v[12:15]
	ds_write_b128 v4, v[24:27] offset:160
	ds_write_b128 v4, v[0:3] offset:320
	;; [unrolled: 1-line block ×3, first 2 shown]
	ds_write_b128 v78, v[36:39]
	ds_write_b128 v78, v[40:43] offset:160
	ds_write_b128 v78, v[16:19] offset:320
	;; [unrolled: 1-line block ×3, first 2 shown]
	buffer_load_dword v0, off, s[28:31], 0 offset:352 ; 4-byte Folded Reload
	v_add_f64 v[20:21], v[44:45], -v[20:21]
	v_add_f64 v[22:23], v[46:47], -v[22:23]
	v_fma_f64 v[48:49], v[48:49], 2.0, -v[32:33]
	v_fma_f64 v[50:51], v[50:51], 2.0, -v[34:35]
	;; [unrolled: 1-line block ×4, first 2 shown]
	s_waitcnt vmcnt(0)
	ds_write_b128 v0, v[44:47]
	ds_write_b128 v0, v[48:51] offset:160
	ds_write_b128 v0, v[20:23] offset:320
	;; [unrolled: 1-line block ×3, first 2 shown]
	s_waitcnt lgkmcnt(0)
	; wave barrier
	s_waitcnt lgkmcnt(0)
	ds_read_b128 v[0:3], v254
	ds_read_b128 v[4:7], v254 offset:1280
	ds_read_b128 v[8:11], v254 offset:2560
	ds_read_b128 v[12:15], v254 offset:3840
	ds_read_b128 v[16:19], v254 offset:256
	ds_read_b128 v[20:23], v254 offset:1536
	ds_read_b128 v[24:27], v254 offset:2816
	ds_read_b128 v[28:31], v254 offset:4096
	s_waitcnt lgkmcnt(5)
	v_mul_f64 v[52:53], v[147:148], v[10:11]
	v_mul_f64 v[54:55], v[147:148], v[8:9]
	;; [unrolled: 1-line block ×4, first 2 shown]
	s_waitcnt lgkmcnt(4)
	v_mul_f64 v[56:57], v[143:144], v[14:15]
	v_mul_f64 v[58:59], v[143:144], v[12:13]
	s_waitcnt lgkmcnt(0)
	v_mul_f64 v[68:69], v[151:152], v[30:31]
	v_mul_f64 v[70:71], v[151:152], v[28:29]
	ds_read_b128 v[32:35], v254 offset:512
	ds_read_b128 v[36:39], v254 offset:1792
	;; [unrolled: 1-line block ×4, first 2 shown]
	v_fma_f64 v[52:53], v[145:146], v[8:9], v[52:53]
	v_fma_f64 v[54:55], v[145:146], v[10:11], -v[54:55]
	v_mul_f64 v[60:61], v[163:164], v[22:23]
	v_mul_f64 v[62:63], v[163:164], v[20:21]
	ds_read_b128 v[8:11], v254 offset:2048
	v_fma_f64 v[48:49], v[153:154], v[4:5], v[48:49]
	v_fma_f64 v[50:51], v[153:154], v[6:7], -v[50:51]
	v_fma_f64 v[56:57], v[141:142], v[12:13], v[56:57]
	v_fma_f64 v[58:59], v[141:142], v[14:15], -v[58:59]
	ds_read_b128 v[12:15], v254 offset:3328
	v_fma_f64 v[68:69], v[149:150], v[28:29], v[68:69]
	v_fma_f64 v[70:71], v[149:150], v[30:31], -v[70:71]
	ds_read_b128 v[28:31], v254 offset:2304
	s_waitcnt lgkmcnt(3)
	v_mul_f64 v[82:83], v[167:168], v[46:47]
	v_mul_f64 v[84:85], v[167:168], v[44:45]
	s_waitcnt lgkmcnt(2)
	v_mul_f64 v[86:87], v[191:192], v[10:11]
	v_mul_f64 v[88:89], v[191:192], v[8:9]
	;; [unrolled: 1-line block ×4, first 2 shown]
	v_fma_f64 v[60:61], v[161:162], v[20:21], v[60:61]
	v_fma_f64 v[62:63], v[161:162], v[22:23], -v[62:63]
	ds_read_b128 v[20:23], v254 offset:4608
	v_mul_f64 v[74:75], v[175:176], v[38:39]
	v_mul_f64 v[76:77], v[175:176], v[36:37]
	;; [unrolled: 1-line block ×4, first 2 shown]
	v_fma_f64 v[44:45], v[165:166], v[44:45], v[82:83]
	v_fma_f64 v[46:47], v[165:166], v[46:47], -v[84:85]
	v_fma_f64 v[82:83], v[189:190], v[8:9], v[86:87]
	v_fma_f64 v[84:85], v[189:190], v[10:11], -v[88:89]
	s_waitcnt lgkmcnt(2)
	v_mul_f64 v[8:9], v[179:180], v[14:15]
	v_mul_f64 v[10:11], v[179:180], v[12:13]
	s_waitcnt lgkmcnt(0)
	v_mul_f64 v[86:87], v[183:184], v[22:23]
	v_mul_f64 v[88:89], v[183:184], v[20:21]
	v_add_f64 v[52:53], v[0:1], -v[52:53]
	v_add_f64 v[54:55], v[2:3], -v[54:55]
	;; [unrolled: 1-line block ×4, first 2 shown]
	ds_read_b128 v[4:7], v254 offset:768
	v_fma_f64 v[64:65], v[157:158], v[24:25], v[64:65]
	v_fma_f64 v[66:67], v[157:158], v[26:27], -v[66:67]
	ds_read_b128 v[24:27], v254 offset:1024
	v_fma_f64 v[74:75], v[173:174], v[36:37], v[74:75]
	v_fma_f64 v[76:77], v[173:174], v[38:39], -v[76:77]
	v_fma_f64 v[78:79], v[169:170], v[40:41], v[78:79]
	v_fma_f64 v[80:81], v[169:170], v[42:43], -v[80:81]
	ds_read_b128 v[36:39], v254 offset:3584
	ds_read_b128 v[40:43], v254 offset:4864
	v_fma_f64 v[90:91], v[177:178], v[12:13], v[8:9]
	v_fma_f64 v[92:93], v[177:178], v[14:15], -v[10:11]
	v_fma_f64 v[86:87], v[181:182], v[20:21], v[86:87]
	v_fma_f64 v[88:89], v[181:182], v[22:23], -v[88:89]
	v_fma_f64 v[8:9], v[0:1], 2.0, -v[52:53]
	v_fma_f64 v[10:11], v[2:3], 2.0, -v[54:55]
	;; [unrolled: 1-line block ×4, first 2 shown]
	v_mul_f64 v[12:13], v[187:188], v[30:31]
	v_mul_f64 v[14:15], v[187:188], v[28:29]
	s_waitcnt lgkmcnt(1)
	v_mul_f64 v[20:21], v[195:196], v[38:39]
	v_mul_f64 v[22:23], v[195:196], v[36:37]
	s_waitcnt lgkmcnt(0)
	v_mul_f64 v[48:49], v[199:200], v[42:43]
	v_mul_f64 v[50:51], v[199:200], v[40:41]
	v_add_f64 v[0:1], v[8:9], -v[0:1]
	v_add_f64 v[2:3], v[10:11], -v[2:3]
	v_fma_f64 v[94:95], v[185:186], v[28:29], v[12:13]
	v_fma_f64 v[96:97], v[185:186], v[30:31], -v[14:15]
	v_fma_f64 v[98:99], v[193:194], v[36:37], v[20:21]
	v_fma_f64 v[100:101], v[193:194], v[38:39], -v[22:23]
	;; [unrolled: 2-line block ×3, first 2 shown]
	v_add_f64 v[40:41], v[16:17], -v[64:65]
	v_add_f64 v[42:43], v[18:19], -v[66:67]
	;; [unrolled: 1-line block ×8, first 2 shown]
	v_add_f64 v[12:13], v[52:53], v[58:59]
	v_add_f64 v[14:15], v[54:55], -v[56:57]
	v_fma_f64 v[36:37], v[16:17], 2.0, -v[40:41]
	v_fma_f64 v[38:39], v[18:19], 2.0, -v[42:43]
	;; [unrolled: 1-line block ×10, first 2 shown]
	v_add_f64 v[68:69], v[4:5], -v[90:91]
	v_add_f64 v[70:71], v[6:7], -v[92:93]
	;; [unrolled: 1-line block ×8, first 2 shown]
	v_fma_f64 v[78:79], v[4:5], 2.0, -v[68:69]
	v_fma_f64 v[80:81], v[6:7], 2.0, -v[70:71]
	;; [unrolled: 1-line block ×8, first 2 shown]
	v_add_f64 v[16:17], v[36:37], -v[16:17]
	v_add_f64 v[18:19], v[38:39], -v[18:19]
	v_add_f64 v[20:21], v[40:41], v[20:21]
	v_add_f64 v[22:23], v[42:43], -v[22:23]
	v_add_f64 v[28:29], v[44:45], -v[28:29]
	v_add_f64 v[30:31], v[46:47], -v[30:31]
	v_add_f64 v[48:49], v[64:65], v[48:49]
	v_add_f64 v[50:51], v[66:67], -v[50:51]
	;; [unrolled: 4-line block ×4, first 2 shown]
	v_fma_f64 v[8:9], v[8:9], 2.0, -v[0:1]
	v_fma_f64 v[10:11], v[10:11], 2.0, -v[2:3]
	;; [unrolled: 1-line block ×18, first 2 shown]
	s_waitcnt lgkmcnt(0)
	; wave barrier
	ds_write_b128 v254, v[8:11]
	ds_write_b128 v254, v[32:35] offset:640
	ds_write_b128 v254, v[0:3] offset:1280
	ds_write_b128 v254, v[12:15] offset:1920
	ds_write_b128 v254, v[36:39] offset:256
	ds_write_b128 v254, v[40:43] offset:896
	ds_write_b128 v254, v[16:19] offset:1536
	ds_write_b128 v254, v[20:23] offset:2176
	ds_write_b128 v73, v[44:47]
	ds_write_b128 v73, v[4:7] offset:640
	ds_write_b128 v73, v[28:31] offset:1280
	ds_write_b128 v73, v[48:51] offset:1920
	ds_write_b128 v254, v[64:67] offset:2688
	ds_write_b128 v254, v[68:71] offset:3328
	ds_write_b128 v254, v[24:27] offset:3968
	ds_write_b128 v254, v[52:55] offset:4608
	ds_write_b128 v254, v[81:84] offset:2944
	ds_write_b128 v254, v[85:88] offset:3584
	ds_write_b128 v254, v[56:59] offset:4224
	ds_write_b128 v254, v[60:63] offset:4864
	s_waitcnt lgkmcnt(0)
	; wave barrier
	s_waitcnt lgkmcnt(0)
	ds_read_b128 v[0:3], v254
	ds_read_b128 v[4:7], v254 offset:2560
	ds_read_b128 v[8:11], v254 offset:256
	;; [unrolled: 1-line block ×19, first 2 shown]
	s_waitcnt lgkmcnt(14)
	v_mul_f64 v[76:77], v[203:204], v[6:7]
	v_mul_f64 v[78:79], v[203:204], v[4:5]
	;; [unrolled: 1-line block ×6, first 2 shown]
	s_waitcnt lgkmcnt(12)
	v_mul_f64 v[93:94], v[215:216], v[30:31]
	v_mul_f64 v[95:96], v[215:216], v[28:29]
	v_fma_f64 v[4:5], v[201:202], v[4:5], v[76:77]
	v_fma_f64 v[6:7], v[201:202], v[6:7], -v[78:79]
	v_fma_f64 v[12:13], v[205:206], v[12:13], v[85:86]
	v_fma_f64 v[14:15], v[205:206], v[14:15], -v[87:88]
	s_waitcnt lgkmcnt(10)
	v_mul_f64 v[76:77], v[219:220], v[38:39]
	v_mul_f64 v[78:79], v[219:220], v[36:37]
	s_waitcnt lgkmcnt(8)
	v_mul_f64 v[85:86], v[223:224], v[46:47]
	v_mul_f64 v[87:88], v[223:224], v[44:45]
	v_fma_f64 v[20:21], v[209:210], v[20:21], v[89:90]
	v_fma_f64 v[22:23], v[209:210], v[22:23], -v[91:92]
	v_fma_f64 v[28:29], v[213:214], v[28:29], v[93:94]
	v_fma_f64 v[30:31], v[213:214], v[30:31], -v[95:96]
	s_waitcnt lgkmcnt(6)
	v_mul_f64 v[89:90], v[227:228], v[54:55]
	v_mul_f64 v[91:92], v[227:228], v[52:53]
	;; [unrolled: 10-line block ×3, first 2 shown]
	s_waitcnt lgkmcnt(0)
	v_mul_f64 v[85:86], v[239:240], v[83:84]
	v_mul_f64 v[87:88], v[239:240], v[81:82]
	v_fma_f64 v[52:53], v[225:226], v[52:53], v[89:90]
	v_fma_f64 v[54:55], v[225:226], v[54:55], -v[91:92]
	v_fma_f64 v[60:61], v[233:234], v[60:61], v[93:94]
	v_fma_f64 v[62:63], v[233:234], v[62:63], -v[95:96]
	v_add_f64 v[4:5], v[0:1], -v[4:5]
	v_add_f64 v[6:7], v[2:3], -v[6:7]
	v_fma_f64 v[68:69], v[229:230], v[68:69], v[76:77]
	v_fma_f64 v[70:71], v[229:230], v[70:71], -v[78:79]
	v_fma_f64 v[76:77], v[237:238], v[81:82], v[85:86]
	v_fma_f64 v[78:79], v[237:238], v[83:84], -v[87:88]
	v_add_f64 v[12:13], v[8:9], -v[12:13]
	v_add_f64 v[14:15], v[10:11], -v[14:15]
	;; [unrolled: 1-line block ×6, first 2 shown]
	v_fma_f64 v[0:1], v[0:1], 2.0, -v[4:5]
	v_fma_f64 v[2:3], v[2:3], 2.0, -v[6:7]
	v_add_f64 v[36:37], v[32:33], -v[36:37]
	v_add_f64 v[38:39], v[34:35], -v[38:39]
	;; [unrolled: 1-line block ×12, first 2 shown]
	v_fma_f64 v[8:9], v[8:9], 2.0, -v[12:13]
	v_fma_f64 v[10:11], v[10:11], 2.0, -v[14:15]
	;; [unrolled: 1-line block ×18, first 2 shown]
	ds_write_b128 v254, v[0:3]
	ds_write_b128 v254, v[4:7] offset:2560
	ds_write_b128 v254, v[8:11] offset:256
	;; [unrolled: 1-line block ×19, first 2 shown]
	s_waitcnt lgkmcnt(0)
	; wave barrier
	s_waitcnt lgkmcnt(0)
	ds_read_b128 v[0:3], v254
	buffer_load_dword v8, off, s[28:31], 0 offset:312 ; 4-byte Folded Reload
	buffer_load_dword v9, off, s[28:31], 0 offset:316 ; 4-byte Folded Reload
	;; [unrolled: 1-line block ×4, first 2 shown]
	v_mov_b32_e32 v16, s5
	s_waitcnt vmcnt(0) lgkmcnt(0)
	v_mul_f64 v[4:5], v[10:11], v[2:3]
	v_mul_f64 v[6:7], v[10:11], v[0:1]
	buffer_load_dword v11, off, s[28:31], 0 offset:160 ; 4-byte Folded Reload
	buffer_load_dword v12, off, s[28:31], 0 offset:164 ; 4-byte Folded Reload
	buffer_load_dword v12, off, s[28:31], 0 offset:328 ; 4-byte Folded Reload
	buffer_load_dword v13, off, s[28:31], 0 offset:332 ; 4-byte Folded Reload
	buffer_load_dword v10, off, s[28:31], 0 offset:336 ; 4-byte Folded Reload
	v_fma_f64 v[4:5], v[8:9], v[0:1], v[4:5]
	v_mov_b32_e32 v0, v8
	v_mov_b32_e32 v1, v9
	v_fma_f64 v[6:7], v[0:1], v[2:3], -v[6:7]
	s_waitcnt vmcnt(0)
	v_mad_u64_u32 v[8:9], s[2:3], s0, v10, 0
	s_mov_b32 s2, 0x9999999a
	s_mov_b32 s3, 0x3f699999
	v_mov_b32_e32 v0, v9
	v_mad_u64_u32 v[9:10], s[6:7], s1, v10, v[0:1]
	ds_read_b128 v[0:3], v254 offset:512
	buffer_load_dword v19, off, s[28:31], 0 offset:296 ; 4-byte Folded Reload
	buffer_load_dword v20, off, s[28:31], 0 offset:300 ; 4-byte Folded Reload
	;; [unrolled: 1-line block ×4, first 2 shown]
	v_mul_f64 v[4:5], v[4:5], s[2:3]
	v_mul_f64 v[6:7], v[6:7], s[2:3]
	v_lshlrev_b64 v[10:11], 4, v[11:12]
	v_add_co_u32_e32 v10, vcc, s4, v10
	v_addc_co_u32_e32 v18, vcc, v16, v11, vcc
	v_lshlrev_b64 v[16:17], 4, v[8:9]
	s_lshl_b64 s[4:5], s[0:1], 9
	v_add_co_u32_e32 v16, vcc, v10, v16
	v_addc_co_u32_e32 v17, vcc, v18, v17, vcc
	global_store_dwordx4 v[16:17], v[4:7], off
	ds_read_b128 v[8:11], v254 offset:1024
	v_add_co_u32_e32 v16, vcc, s4, v16
	s_mulk_i32 s1, 0xef00
	s_waitcnt vmcnt(1) lgkmcnt(1)
	v_mul_f64 v[12:13], v[21:22], v[2:3]
	v_mul_f64 v[14:15], v[21:22], v[0:1]
	v_fma_f64 v[0:1], v[19:20], v[0:1], v[12:13]
	v_fma_f64 v[12:13], v[19:20], v[2:3], -v[14:15]
	buffer_load_dword v20, off, s[28:31], 0 offset:280 ; 4-byte Folded Reload
	buffer_load_dword v21, off, s[28:31], 0 offset:284 ; 4-byte Folded Reload
	;; [unrolled: 1-line block ×4, first 2 shown]
	v_mul_f64 v[2:3], v[0:1], s[2:3]
	v_mul_f64 v[4:5], v[12:13], s[2:3]
	ds_read_b128 v[12:15], v254 offset:1536
	v_mov_b32_e32 v1, s5
	v_addc_co_u32_e32 v17, vcc, v17, v1, vcc
	v_mov_b32_e32 v0, 0xffffef00
	s_waitcnt vmcnt(0) lgkmcnt(1)
	v_mul_f64 v[6:7], v[22:23], v[10:11]
	v_mul_f64 v[18:19], v[22:23], v[8:9]
	v_fma_f64 v[6:7], v[20:21], v[8:9], v[6:7]
	v_fma_f64 v[8:9], v[20:21], v[10:11], -v[18:19]
	buffer_load_dword v20, off, s[28:31], 0 offset:264 ; 4-byte Folded Reload
	buffer_load_dword v21, off, s[28:31], 0 offset:268 ; 4-byte Folded Reload
	;; [unrolled: 1-line block ×4, first 2 shown]
	v_mul_f64 v[6:7], v[6:7], s[2:3]
	global_store_dwordx4 v[16:17], v[2:5], off
	ds_read_b128 v[2:5], v254 offset:2048
	v_mul_f64 v[8:9], v[8:9], s[2:3]
	v_add_co_u32_e32 v16, vcc, s4, v16
	v_addc_co_u32_e32 v17, vcc, v17, v1, vcc
	s_waitcnt vmcnt(1) lgkmcnt(1)
	v_mul_f64 v[10:11], v[22:23], v[14:15]
	v_mul_f64 v[18:19], v[22:23], v[12:13]
	v_fma_f64 v[10:11], v[20:21], v[12:13], v[10:11]
	v_fma_f64 v[12:13], v[20:21], v[14:15], -v[18:19]
	buffer_load_dword v20, off, s[28:31], 0 offset:248 ; 4-byte Folded Reload
	buffer_load_dword v21, off, s[28:31], 0 offset:252 ; 4-byte Folded Reload
	;; [unrolled: 1-line block ×4, first 2 shown]
	s_waitcnt vmcnt(0) lgkmcnt(0)
	v_mul_f64 v[14:15], v[22:23], v[4:5]
	v_mul_f64 v[18:19], v[22:23], v[2:3]
	global_store_dwordx4 v[16:17], v[6:9], off
	s_nop 0
	v_mul_f64 v[6:7], v[10:11], s[2:3]
	v_mul_f64 v[8:9], v[12:13], s[2:3]
	v_fma_f64 v[10:11], v[20:21], v[2:3], v[14:15]
	v_fma_f64 v[12:13], v[20:21], v[4:5], -v[18:19]
	ds_read_b128 v[2:5], v254 offset:2560
	buffer_load_dword v20, off, s[28:31], 0 offset:232 ; 4-byte Folded Reload
	buffer_load_dword v21, off, s[28:31], 0 offset:236 ; 4-byte Folded Reload
	;; [unrolled: 1-line block ×4, first 2 shown]
	v_add_co_u32_e32 v14, vcc, s4, v16
	v_addc_co_u32_e32 v15, vcc, v17, v1, vcc
	global_store_dwordx4 v[14:15], v[6:9], off
	v_add_co_u32_e32 v14, vcc, s4, v14
	v_mul_f64 v[6:7], v[10:11], s[2:3]
	v_mul_f64 v[8:9], v[12:13], s[2:3]
	ds_read_b128 v[10:13], v253 offset:3072
	v_addc_co_u32_e32 v15, vcc, v15, v1, vcc
	s_waitcnt vmcnt(1) lgkmcnt(1)
	v_mul_f64 v[16:17], v[22:23], v[4:5]
	v_mul_f64 v[18:19], v[22:23], v[2:3]
	v_fma_f64 v[16:17], v[20:21], v[2:3], v[16:17]
	v_fma_f64 v[18:19], v[20:21], v[4:5], -v[18:19]
	buffer_load_dword v2, off, s[28:31], 0 offset:216 ; 4-byte Folded Reload
	buffer_load_dword v3, off, s[28:31], 0 offset:220 ; 4-byte Folded Reload
	;; [unrolled: 1-line block ×4, first 2 shown]
	s_waitcnt vmcnt(0) lgkmcnt(0)
	v_mul_f64 v[20:21], v[4:5], v[12:13]
	v_mul_f64 v[22:23], v[4:5], v[10:11]
	v_mov_b32_e32 v25, v3
	v_mov_b32_e32 v24, v2
	global_store_dwordx4 v[14:15], v[6:9], off
	ds_read_b128 v[2:5], v253 offset:3584
	v_mul_f64 v[6:7], v[16:17], s[2:3]
	v_mul_f64 v[8:9], v[18:19], s[2:3]
	v_fma_f64 v[10:11], v[24:25], v[10:11], v[20:21]
	v_fma_f64 v[12:13], v[24:25], v[12:13], -v[22:23]
	buffer_load_dword v20, off, s[28:31], 0 offset:200 ; 4-byte Folded Reload
	buffer_load_dword v21, off, s[28:31], 0 offset:204 ; 4-byte Folded Reload
	;; [unrolled: 1-line block ×4, first 2 shown]
	v_add_co_u32_e32 v14, vcc, s4, v14
	v_addc_co_u32_e32 v15, vcc, v15, v1, vcc
	global_store_dwordx4 v[14:15], v[6:9], off
	v_add_co_u32_e32 v14, vcc, s4, v14
	v_mul_f64 v[6:7], v[10:11], s[2:3]
	v_mul_f64 v[8:9], v[12:13], s[2:3]
	v_addc_co_u32_e32 v15, vcc, v15, v1, vcc
	s_waitcnt vmcnt(1) lgkmcnt(0)
	v_mul_f64 v[16:17], v[22:23], v[4:5]
	v_mul_f64 v[18:19], v[22:23], v[2:3]
	v_fma_f64 v[10:11], v[20:21], v[2:3], v[16:17]
	v_fma_f64 v[12:13], v[20:21], v[4:5], -v[18:19]
	ds_read_b128 v[2:5], v253 offset:4096
	buffer_load_dword v20, off, s[28:31], 0 offset:184 ; 4-byte Folded Reload
	buffer_load_dword v21, off, s[28:31], 0 offset:188 ; 4-byte Folded Reload
	;; [unrolled: 1-line block ×4, first 2 shown]
	s_waitcnt vmcnt(0) lgkmcnt(0)
	v_mul_f64 v[16:17], v[22:23], v[4:5]
	v_mul_f64 v[18:19], v[22:23], v[2:3]
	global_store_dwordx4 v[14:15], v[6:9], off
	v_add_co_u32_e32 v14, vcc, s4, v14
	v_mul_f64 v[6:7], v[10:11], s[2:3]
	v_mul_f64 v[8:9], v[12:13], s[2:3]
	ds_read_b128 v[10:13], v253 offset:4608
	v_fma_f64 v[16:17], v[20:21], v[2:3], v[16:17]
	v_fma_f64 v[18:19], v[20:21], v[4:5], -v[18:19]
	buffer_load_dword v2, off, s[28:31], 0 offset:168 ; 4-byte Folded Reload
	buffer_load_dword v3, off, s[28:31], 0 offset:172 ; 4-byte Folded Reload
	;; [unrolled: 1-line block ×4, first 2 shown]
	v_addc_co_u32_e32 v15, vcc, v15, v1, vcc
	global_store_dwordx4 v[14:15], v[6:9], off
	v_add_co_u32_e32 v14, vcc, s4, v14
	v_mul_f64 v[6:7], v[16:17], s[2:3]
	v_mul_f64 v[8:9], v[18:19], s[2:3]
	v_addc_co_u32_e32 v15, vcc, v15, v1, vcc
	s_waitcnt vmcnt(1) lgkmcnt(0)
	v_mul_f64 v[20:21], v[4:5], v[12:13]
	v_mul_f64 v[22:23], v[4:5], v[10:11]
	v_mov_b32_e32 v25, v3
	v_mov_b32_e32 v24, v2
	ds_read_b128 v[2:5], v254 offset:256
	v_fma_f64 v[10:11], v[24:25], v[10:11], v[20:21]
	v_fma_f64 v[12:13], v[24:25], v[12:13], -v[22:23]
	buffer_load_dword v20, off, s[28:31], 0 offset:144 ; 4-byte Folded Reload
	buffer_load_dword v21, off, s[28:31], 0 offset:148 ; 4-byte Folded Reload
	;; [unrolled: 1-line block ×4, first 2 shown]
	s_waitcnt vmcnt(0) lgkmcnt(0)
	v_mul_f64 v[16:17], v[22:23], v[4:5]
	global_store_dwordx4 v[14:15], v[6:9], off
	v_mul_f64 v[18:19], v[22:23], v[2:3]
	v_mul_f64 v[6:7], v[10:11], s[2:3]
	;; [unrolled: 1-line block ×3, first 2 shown]
	v_add_co_u32_e32 v14, vcc, s4, v14
	v_addc_co_u32_e32 v15, vcc, v15, v1, vcc
	v_fma_f64 v[10:11], v[20:21], v[2:3], v[16:17]
	v_fma_f64 v[12:13], v[20:21], v[4:5], -v[18:19]
	ds_read_b128 v[2:5], v254 offset:768
	global_store_dwordx4 v[14:15], v[6:9], off
	buffer_load_dword v6, off, s[28:31], 0 offset:112 ; 4-byte Folded Reload
	s_nop 0
	buffer_load_dword v7, off, s[28:31], 0 offset:116 ; 4-byte Folded Reload
	buffer_load_dword v8, off, s[28:31], 0 offset:120 ; 4-byte Folded Reload
	buffer_load_dword v9, off, s[28:31], 0 offset:124 ; 4-byte Folded Reload
	v_mad_u64_u32 v[14:15], s[6:7], s0, v0, v[14:15]
	s_sub_i32 s0, s1, s0
	v_add_u32_e32 v15, s0, v15
	s_waitcnt vmcnt(0) lgkmcnt(0)
	v_mul_f64 v[16:17], v[8:9], v[4:5]
	v_mul_f64 v[18:19], v[8:9], v[2:3]
	v_mov_b32_e32 v21, v7
	v_mov_b32_e32 v20, v6
	v_mul_f64 v[6:7], v[10:11], s[2:3]
	v_mul_f64 v[8:9], v[12:13], s[2:3]
	ds_read_b128 v[10:13], v253 offset:1280
	v_fma_f64 v[16:17], v[20:21], v[2:3], v[16:17]
	v_fma_f64 v[18:19], v[20:21], v[4:5], -v[18:19]
	buffer_load_dword v2, off, s[28:31], 0 offset:128 ; 4-byte Folded Reload
	buffer_load_dword v3, off, s[28:31], 0 offset:132 ; 4-byte Folded Reload
	;; [unrolled: 1-line block ×4, first 2 shown]
	s_waitcnt vmcnt(0) lgkmcnt(0)
	v_mul_f64 v[20:21], v[4:5], v[12:13]
	v_mul_f64 v[22:23], v[4:5], v[10:11]
	v_mov_b32_e32 v25, v3
	v_mov_b32_e32 v24, v2
	global_store_dwordx4 v[14:15], v[6:9], off
	ds_read_b128 v[2:5], v253 offset:1792
	v_mul_f64 v[6:7], v[16:17], s[2:3]
	v_mul_f64 v[8:9], v[18:19], s[2:3]
	v_fma_f64 v[10:11], v[24:25], v[10:11], v[20:21]
	v_fma_f64 v[12:13], v[24:25], v[12:13], -v[22:23]
	buffer_load_dword v20, off, s[28:31], 0 offset:96 ; 4-byte Folded Reload
	buffer_load_dword v21, off, s[28:31], 0 offset:100 ; 4-byte Folded Reload
	;; [unrolled: 1-line block ×4, first 2 shown]
	v_add_co_u32_e32 v14, vcc, s4, v14
	v_addc_co_u32_e32 v15, vcc, v15, v1, vcc
	global_store_dwordx4 v[14:15], v[6:9], off
	v_add_co_u32_e32 v14, vcc, s4, v14
	v_mul_f64 v[6:7], v[10:11], s[2:3]
	v_mul_f64 v[8:9], v[12:13], s[2:3]
	v_addc_co_u32_e32 v15, vcc, v15, v1, vcc
	s_waitcnt vmcnt(1) lgkmcnt(0)
	v_mul_f64 v[16:17], v[22:23], v[4:5]
	v_mul_f64 v[18:19], v[22:23], v[2:3]
	v_fma_f64 v[10:11], v[20:21], v[2:3], v[16:17]
	v_fma_f64 v[12:13], v[20:21], v[4:5], -v[18:19]
	ds_read_b128 v[2:5], v253 offset:2304
	buffer_load_dword v20, off, s[28:31], 0 offset:80 ; 4-byte Folded Reload
	buffer_load_dword v21, off, s[28:31], 0 offset:84 ; 4-byte Folded Reload
	;; [unrolled: 1-line block ×4, first 2 shown]
	s_waitcnt vmcnt(0) lgkmcnt(0)
	v_mul_f64 v[16:17], v[22:23], v[4:5]
	v_mul_f64 v[18:19], v[22:23], v[2:3]
	global_store_dwordx4 v[14:15], v[6:9], off
	v_add_co_u32_e32 v14, vcc, s4, v14
	v_mul_f64 v[6:7], v[10:11], s[2:3]
	v_mul_f64 v[8:9], v[12:13], s[2:3]
	ds_read_b128 v[10:13], v254 offset:2816
	v_fma_f64 v[16:17], v[20:21], v[2:3], v[16:17]
	v_fma_f64 v[18:19], v[20:21], v[4:5], -v[18:19]
	buffer_load_dword v2, off, s[28:31], 0 offset:64 ; 4-byte Folded Reload
	buffer_load_dword v3, off, s[28:31], 0 offset:68 ; 4-byte Folded Reload
	;; [unrolled: 1-line block ×4, first 2 shown]
	v_addc_co_u32_e32 v15, vcc, v15, v1, vcc
	global_store_dwordx4 v[14:15], v[6:9], off
	v_add_co_u32_e32 v14, vcc, s4, v14
	v_mul_f64 v[6:7], v[16:17], s[2:3]
	v_mul_f64 v[8:9], v[18:19], s[2:3]
	v_addc_co_u32_e32 v15, vcc, v15, v1, vcc
	s_waitcnt vmcnt(1) lgkmcnt(0)
	v_mul_f64 v[20:21], v[4:5], v[12:13]
	v_mul_f64 v[22:23], v[4:5], v[10:11]
	v_mov_b32_e32 v25, v3
	v_mov_b32_e32 v24, v2
	ds_read_b128 v[2:5], v253 offset:3328
	v_fma_f64 v[10:11], v[24:25], v[10:11], v[20:21]
	v_fma_f64 v[12:13], v[24:25], v[12:13], -v[22:23]
	buffer_load_dword v20, off, s[28:31], 0 offset:48 ; 4-byte Folded Reload
	buffer_load_dword v21, off, s[28:31], 0 offset:52 ; 4-byte Folded Reload
	;; [unrolled: 1-line block ×4, first 2 shown]
	s_waitcnt vmcnt(0) lgkmcnt(0)
	v_mul_f64 v[16:17], v[22:23], v[4:5]
	v_mul_f64 v[18:19], v[22:23], v[2:3]
	global_store_dwordx4 v[14:15], v[6:9], off
	v_add_co_u32_e32 v14, vcc, s4, v14
	v_mul_f64 v[6:7], v[10:11], s[2:3]
	v_mul_f64 v[8:9], v[12:13], s[2:3]
	v_addc_co_u32_e32 v15, vcc, v15, v1, vcc
	v_fma_f64 v[10:11], v[20:21], v[2:3], v[16:17]
	v_fma_f64 v[12:13], v[20:21], v[4:5], -v[18:19]
	ds_read_b128 v[2:5], v253 offset:3840
	buffer_load_dword v20, off, s[28:31], 0 offset:32 ; 4-byte Folded Reload
	buffer_load_dword v21, off, s[28:31], 0 offset:36 ; 4-byte Folded Reload
	;; [unrolled: 1-line block ×4, first 2 shown]
	s_waitcnt vmcnt(0) lgkmcnt(0)
	v_mul_f64 v[16:17], v[22:23], v[4:5]
	global_store_dwordx4 v[14:15], v[6:9], off
	v_mul_f64 v[18:19], v[22:23], v[2:3]
	v_mul_f64 v[6:7], v[10:11], s[2:3]
	;; [unrolled: 1-line block ×3, first 2 shown]
	v_add_co_u32_e32 v14, vcc, s4, v14
	v_addc_co_u32_e32 v15, vcc, v15, v1, vcc
	ds_read_b128 v[10:13], v253 offset:4352
	buffer_load_dword v32, off, s[28:31], 0 offset:16 ; 4-byte Folded Reload
	buffer_load_dword v33, off, s[28:31], 0 offset:20 ; 4-byte Folded Reload
	;; [unrolled: 1-line block ×4, first 2 shown]
	v_fma_f64 v[16:17], v[20:21], v[2:3], v[16:17]
	global_store_dwordx4 v[14:15], v[6:9], off
	v_fma_f64 v[18:19], v[20:21], v[4:5], -v[18:19]
	ds_read_b128 v[2:5], v253 offset:4864
	buffer_load_dword v28, off, s[28:31], 0 ; 4-byte Folded Reload
	buffer_load_dword v29, off, s[28:31], 0 offset:4 ; 4-byte Folded Reload
	buffer_load_dword v30, off, s[28:31], 0 offset:8 ; 4-byte Folded Reload
	;; [unrolled: 1-line block ×3, first 2 shown]
	v_add_co_u32_e32 v14, vcc, s4, v14
	v_addc_co_u32_e32 v15, vcc, v15, v1, vcc
	v_mul_f64 v[6:7], v[16:17], s[2:3]
	v_mul_f64 v[8:9], v[18:19], s[2:3]
	global_store_dwordx4 v[14:15], v[6:9], off
	s_waitcnt vmcnt(6) lgkmcnt(1)
	v_mul_f64 v[20:21], v[34:35], v[12:13]
	v_mul_f64 v[22:23], v[34:35], v[10:11]
	v_mov_b32_e32 v16, v32
	v_mov_b32_e32 v17, v33
	s_waitcnt vmcnt(1) lgkmcnt(0)
	v_mul_f64 v[24:25], v[30:31], v[4:5]
	v_mul_f64 v[26:27], v[30:31], v[2:3]
	v_fma_f64 v[10:11], v[16:17], v[10:11], v[20:21]
	v_fma_f64 v[12:13], v[16:17], v[12:13], -v[22:23]
	v_fma_f64 v[16:17], v[28:29], v[2:3], v[24:25]
	v_fma_f64 v[18:19], v[28:29], v[4:5], -v[26:27]
	v_mul_f64 v[2:3], v[10:11], s[2:3]
	v_mul_f64 v[4:5], v[12:13], s[2:3]
	v_add_co_u32_e32 v10, vcc, s4, v14
	v_addc_co_u32_e32 v11, vcc, v15, v1, vcc
	v_mul_f64 v[6:7], v[16:17], s[2:3]
	v_mul_f64 v[8:9], v[18:19], s[2:3]
	v_add_co_u32_e32 v0, vcc, s4, v10
	v_addc_co_u32_e32 v1, vcc, v11, v1, vcc
	global_store_dwordx4 v[10:11], v[2:5], off
	global_store_dwordx4 v[0:1], v[6:9], off
.LBB0_2:
	s_endpgm
	.section	.rodata,"a",@progbits
	.p2align	6, 0x0
	.amdhsa_kernel bluestein_single_fwd_len320_dim1_dp_op_CI_CI
		.amdhsa_group_segment_fixed_size 20480
		.amdhsa_private_segment_fixed_size 360
		.amdhsa_kernarg_size 104
		.amdhsa_user_sgpr_count 6
		.amdhsa_user_sgpr_private_segment_buffer 1
		.amdhsa_user_sgpr_dispatch_ptr 0
		.amdhsa_user_sgpr_queue_ptr 0
		.amdhsa_user_sgpr_kernarg_segment_ptr 1
		.amdhsa_user_sgpr_dispatch_id 0
		.amdhsa_user_sgpr_flat_scratch_init 0
		.amdhsa_user_sgpr_private_segment_size 0
		.amdhsa_uses_dynamic_stack 0
		.amdhsa_system_sgpr_private_segment_wavefront_offset 1
		.amdhsa_system_sgpr_workgroup_id_x 1
		.amdhsa_system_sgpr_workgroup_id_y 0
		.amdhsa_system_sgpr_workgroup_id_z 0
		.amdhsa_system_sgpr_workgroup_info 0
		.amdhsa_system_vgpr_workitem_id 0
		.amdhsa_next_free_vgpr 256
		.amdhsa_next_free_sgpr 32
		.amdhsa_reserve_vcc 1
		.amdhsa_reserve_flat_scratch 0
		.amdhsa_float_round_mode_32 0
		.amdhsa_float_round_mode_16_64 0
		.amdhsa_float_denorm_mode_32 3
		.amdhsa_float_denorm_mode_16_64 3
		.amdhsa_dx10_clamp 1
		.amdhsa_ieee_mode 1
		.amdhsa_fp16_overflow 0
		.amdhsa_exception_fp_ieee_invalid_op 0
		.amdhsa_exception_fp_denorm_src 0
		.amdhsa_exception_fp_ieee_div_zero 0
		.amdhsa_exception_fp_ieee_overflow 0
		.amdhsa_exception_fp_ieee_underflow 0
		.amdhsa_exception_fp_ieee_inexact 0
		.amdhsa_exception_int_div_zero 0
	.end_amdhsa_kernel
	.text
.Lfunc_end0:
	.size	bluestein_single_fwd_len320_dim1_dp_op_CI_CI, .Lfunc_end0-bluestein_single_fwd_len320_dim1_dp_op_CI_CI
                                        ; -- End function
	.section	.AMDGPU.csdata,"",@progbits
; Kernel info:
; codeLenInByte = 20492
; NumSgprs: 36
; NumVgprs: 256
; ScratchSize: 360
; MemoryBound: 0
; FloatMode: 240
; IeeeMode: 1
; LDSByteSize: 20480 bytes/workgroup (compile time only)
; SGPRBlocks: 4
; VGPRBlocks: 63
; NumSGPRsForWavesPerEU: 36
; NumVGPRsForWavesPerEU: 256
; Occupancy: 1
; WaveLimiterHint : 1
; COMPUTE_PGM_RSRC2:SCRATCH_EN: 1
; COMPUTE_PGM_RSRC2:USER_SGPR: 6
; COMPUTE_PGM_RSRC2:TRAP_HANDLER: 0
; COMPUTE_PGM_RSRC2:TGID_X_EN: 1
; COMPUTE_PGM_RSRC2:TGID_Y_EN: 0
; COMPUTE_PGM_RSRC2:TGID_Z_EN: 0
; COMPUTE_PGM_RSRC2:TIDIG_COMP_CNT: 0
	.type	__hip_cuid_684661c287d782d7,@object ; @__hip_cuid_684661c287d782d7
	.section	.bss,"aw",@nobits
	.globl	__hip_cuid_684661c287d782d7
__hip_cuid_684661c287d782d7:
	.byte	0                               ; 0x0
	.size	__hip_cuid_684661c287d782d7, 1

	.ident	"AMD clang version 19.0.0git (https://github.com/RadeonOpenCompute/llvm-project roc-6.4.0 25133 c7fe45cf4b819c5991fe208aaa96edf142730f1d)"
	.section	".note.GNU-stack","",@progbits
	.addrsig
	.addrsig_sym __hip_cuid_684661c287d782d7
	.amdgpu_metadata
---
amdhsa.kernels:
  - .args:
      - .actual_access:  read_only
        .address_space:  global
        .offset:         0
        .size:           8
        .value_kind:     global_buffer
      - .actual_access:  read_only
        .address_space:  global
        .offset:         8
        .size:           8
        .value_kind:     global_buffer
      - .actual_access:  read_only
        .address_space:  global
        .offset:         16
        .size:           8
        .value_kind:     global_buffer
      - .actual_access:  read_only
        .address_space:  global
        .offset:         24
        .size:           8
        .value_kind:     global_buffer
      - .actual_access:  read_only
        .address_space:  global
        .offset:         32
        .size:           8
        .value_kind:     global_buffer
      - .offset:         40
        .size:           8
        .value_kind:     by_value
      - .address_space:  global
        .offset:         48
        .size:           8
        .value_kind:     global_buffer
      - .address_space:  global
        .offset:         56
        .size:           8
        .value_kind:     global_buffer
      - .address_space:  global
        .offset:         64
        .size:           8
        .value_kind:     global_buffer
      - .address_space:  global
        .offset:         72
        .size:           8
        .value_kind:     global_buffer
      - .offset:         80
        .size:           4
        .value_kind:     by_value
      - .address_space:  global
        .offset:         88
        .size:           8
        .value_kind:     global_buffer
      - .address_space:  global
        .offset:         96
        .size:           8
        .value_kind:     global_buffer
    .group_segment_fixed_size: 20480
    .kernarg_segment_align: 8
    .kernarg_segment_size: 104
    .language:       OpenCL C
    .language_version:
      - 2
      - 0
    .max_flat_workgroup_size: 64
    .name:           bluestein_single_fwd_len320_dim1_dp_op_CI_CI
    .private_segment_fixed_size: 360
    .sgpr_count:     36
    .sgpr_spill_count: 0
    .symbol:         bluestein_single_fwd_len320_dim1_dp_op_CI_CI.kd
    .uniform_work_group_size: 1
    .uses_dynamic_stack: false
    .vgpr_count:     256
    .vgpr_spill_count: 89
    .wavefront_size: 64
amdhsa.target:   amdgcn-amd-amdhsa--gfx906
amdhsa.version:
  - 1
  - 2
...

	.end_amdgpu_metadata
